;; amdgpu-corpus repo=ROCm/rocFFT kind=compiled arch=gfx906 opt=O3
	.text
	.amdgcn_target "amdgcn-amd-amdhsa--gfx906"
	.amdhsa_code_object_version 6
	.protected	bluestein_single_back_len112_dim1_half_op_CI_CI ; -- Begin function bluestein_single_back_len112_dim1_half_op_CI_CI
	.globl	bluestein_single_back_len112_dim1_half_op_CI_CI
	.p2align	8
	.type	bluestein_single_back_len112_dim1_half_op_CI_CI,@function
bluestein_single_back_len112_dim1_half_op_CI_CI: ; @bluestein_single_back_len112_dim1_half_op_CI_CI
; %bb.0:
	s_load_dwordx4 s[0:3], s[4:5], 0x28
	v_lshrrev_b32_e32 v1, 4, v0
	v_lshl_or_b32 v8, s6, 4, v1
	v_mov_b32_e32 v9, 0
	s_waitcnt lgkmcnt(0)
	v_cmp_gt_u64_e32 vcc, s[0:1], v[8:9]
	s_and_saveexec_b64 s[0:1], vcc
	s_cbranch_execz .LBB0_15
; %bb.1:
	s_load_dwordx2 s[6:7], s[4:5], 0x0
	s_load_dwordx2 s[12:13], s[4:5], 0x38
	v_and_b32_e32 v25, 15, v0
	v_mul_u32_u24_e32 v26, 0x70, v1
	v_cmp_gt_u32_e32 vcc, 7, v25
	v_lshlrev_b32_e32 v23, 2, v25
	v_or_b32_e32 v17, v26, v25
	v_add_lshl_u32 v1, v26, v25, 2
	v_or_b32_e32 v24, 56, v25
	s_and_saveexec_b64 s[14:15], vcc
	s_cbranch_execz .LBB0_3
; %bb.2:
	s_load_dwordx2 s[0:1], s[4:5], 0x18
	v_lshlrev_b32_e32 v28, 2, v17
	s_waitcnt lgkmcnt(0)
	s_load_dwordx4 s[8:11], s[0:1], 0x0
	s_waitcnt lgkmcnt(0)
	v_mad_u64_u32 v[2:3], s[0:1], s10, v8, 0
	v_mad_u64_u32 v[4:5], s[0:1], s8, v25, 0
	v_mov_b32_e32 v0, v3
	v_mov_b32_e32 v3, v5
	v_mad_u64_u32 v[5:6], s[0:1], s11, v8, v[0:1]
	v_mad_u64_u32 v[6:7], s[0:1], s9, v25, v[3:4]
	v_mov_b32_e32 v3, v5
	v_lshlrev_b64 v[2:3], 2, v[2:3]
	v_mov_b32_e32 v5, v6
	v_mov_b32_e32 v0, s3
	v_lshlrev_b64 v[4:5], 2, v[4:5]
	v_add_co_u32_e64 v9, s[0:1], s2, v2
	v_addc_co_u32_e64 v10, s[0:1], v0, v3, s[0:1]
	v_add_co_u32_e64 v2, s[0:1], v9, v4
	v_addc_co_u32_e64 v3, s[0:1], v10, v5, s[0:1]
	s_mul_i32 s0, s9, 28
	s_mul_hi_u32 s2, s8, 28
	s_add_i32 s2, s2, s0
	s_mul_i32 s3, s8, 28
	v_mov_b32_e32 v0, s2
	v_add_co_u32_e64 v4, s[0:1], s3, v2
	v_addc_co_u32_e64 v5, s[0:1], v3, v0, s[0:1]
	global_load_dword v11, v[2:3], off
	global_load_dword v12, v[4:5], off
	global_load_dword v13, v23, s[6:7]
	global_load_dword v14, v23, s[6:7] offset:28
	v_add_co_u32_e64 v2, s[0:1], s3, v4
	v_addc_co_u32_e64 v3, s[0:1], v5, v0, s[0:1]
	global_load_dword v15, v[2:3], off
	global_load_dword v16, v23, s[6:7] offset:56
	v_add_co_u32_e64 v2, s[0:1], s3, v2
	v_addc_co_u32_e64 v3, s[0:1], v3, v0, s[0:1]
	v_mad_u64_u32 v[4:5], s[0:1], s8, v24, 0
	global_load_dword v18, v[2:3], off
	v_mov_b32_e32 v7, s2
	v_mov_b32_e32 v0, v5
	v_mad_u64_u32 v[5:6], s[0:1], s9, v24, v[0:1]
	v_add_co_u32_e64 v2, s[0:1], s3, v2
	v_addc_co_u32_e64 v3, s[0:1], v3, v7, s[0:1]
	global_load_dword v19, v23, s[6:7] offset:84
	global_load_dword v20, v23, s[6:7] offset:112
	;; [unrolled: 1-line block ×5, first 2 shown]
	v_mov_b32_e32 v0, s2
	global_load_dword v31, v[2:3], off
	v_add_co_u32_e64 v2, s[0:1], s3, v2
	v_addc_co_u32_e64 v3, s[0:1], v3, v0, s[0:1]
	v_mov_b32_e32 v29, s2
	v_add_co_u32_e64 v6, s[0:1], s3, v2
	v_addc_co_u32_e64 v7, s[0:1], v3, v29, s[0:1]
	global_load_dword v29, v[2:3], off
	v_mov_b32_e32 v30, s2
	v_add_co_u32_e64 v2, s[0:1], s3, v6
	v_addc_co_u32_e64 v3, s[0:1], v7, v30, s[0:1]
	global_load_dword v30, v[6:7], off
	global_load_dword v32, v[2:3], off
	v_mad_u64_u32 v[2:3], s[0:1], s8, 56, v[2:3]
	v_lshlrev_b64 v[4:5], 2, v[4:5]
	v_mov_b32_e32 v34, s2
	v_mov_b32_e32 v35, s2
	s_waitcnt vmcnt(15)
	v_lshrrev_b32_e32 v0, 16, v11
	s_waitcnt vmcnt(14)
	v_lshrrev_b32_e32 v7, 16, v12
	s_waitcnt vmcnt(13)
	v_mul_f16_sdwa v6, v13, v11 dst_sel:DWORD dst_unused:UNUSED_PAD src0_sel:WORD_1 src1_sel:DWORD
	v_fma_f16 v6, v13, v0, -v6
	v_mul_f16_sdwa v0, v13, v0 dst_sel:DWORD dst_unused:UNUSED_PAD src0_sel:WORD_1 src1_sel:DWORD
	s_waitcnt vmcnt(12)
	v_mul_f16_sdwa v33, v14, v12 dst_sel:DWORD dst_unused:UNUSED_PAD src0_sel:WORD_1 src1_sel:DWORD
	v_fma_f16 v0, v13, v11, v0
	v_fma_f16 v11, v14, v7, -v33
	v_mul_f16_sdwa v7, v14, v7 dst_sel:DWORD dst_unused:UNUSED_PAD src0_sel:WORD_1 src1_sel:DWORD
	s_waitcnt vmcnt(11)
	v_lshrrev_b32_e32 v13, 16, v15
	s_waitcnt vmcnt(10)
	v_mul_f16_sdwa v33, v16, v15 dst_sel:DWORD dst_unused:UNUSED_PAD src0_sel:WORD_1 src1_sel:DWORD
	v_fma_f16 v7, v14, v12, v7
	v_pack_b32_f16 v0, v0, v6
	v_mul_f16_sdwa v12, v16, v13 dst_sel:DWORD dst_unused:UNUSED_PAD src0_sel:WORD_1 src1_sel:DWORD
	v_fma_f16 v6, v16, v13, -v33
	ds_write_b32 v28, v0
	v_fma_f16 v0, v16, v15, v12
	v_pack_b32_f16 v7, v7, v11
	v_pack_b32_f16 v11, v0, v6
	v_mov_b32_e32 v0, v3
	ds_write_b32 v1, v7 offset:28
	v_mad_u64_u32 v[6:7], s[0:1], s9, 56, v[0:1]
	v_add_co_u32_e64 v3, s[0:1], v9, v4
	v_addc_co_u32_e64 v4, s[0:1], v10, v5, s[0:1]
	global_load_dword v0, v[3:4], off
	global_load_dword v5, v23, s[6:7] offset:224
	v_mov_b32_e32 v3, v6
	global_load_dword v4, v[2:3], off
	global_load_dword v6, v23, s[6:7] offset:252
	global_load_dword v7, v23, s[6:7] offset:280
	;; [unrolled: 1-line block ×4, first 2 shown]
	v_mov_b32_e32 v12, s2
	v_add_co_u32_e64 v2, s[0:1], s3, v2
	v_addc_co_u32_e64 v3, s[0:1], v3, v12, s[0:1]
	global_load_dword v12, v[2:3], off
	v_mov_b32_e32 v14, s2
	v_add_co_u32_e64 v2, s[0:1], s3, v2
	v_addc_co_u32_e64 v3, s[0:1], v3, v14, s[0:1]
	global_load_dword v14, v[2:3], off
	;; [unrolled: 4-line block ×3, first 2 shown]
	v_add_co_u32_e64 v2, s[0:1], s3, v2
	v_addc_co_u32_e64 v3, s[0:1], v3, v15, s[0:1]
	global_load_dword v15, v[2:3], off
	global_load_dword v28, v23, s[6:7] offset:364
	global_load_dword v33, v23, s[6:7] offset:392
	v_add_co_u32_e64 v2, s[0:1], s3, v2
	v_addc_co_u32_e64 v3, s[0:1], v3, v34, s[0:1]
	global_load_dword v34, v[2:3], off
	v_add_co_u32_e64 v2, s[0:1], s3, v2
	v_addc_co_u32_e64 v3, s[0:1], v3, v35, s[0:1]
	global_load_dword v35, v[2:3], off
	global_load_dword v36, v23, s[6:7] offset:420
	s_waitcnt vmcnt(25)
	v_lshrrev_b32_e32 v13, 16, v18
	s_waitcnt vmcnt(24)
	v_mul_f16_sdwa v2, v19, v18 dst_sel:DWORD dst_unused:UNUSED_PAD src0_sel:WORD_1 src1_sel:DWORD
	v_mul_f16_sdwa v3, v19, v13 dst_sel:DWORD dst_unused:UNUSED_PAD src0_sel:WORD_1 src1_sel:DWORD
	v_fma_f16 v2, v19, v13, -v2
	v_fma_f16 v3, v19, v18, v3
	v_pack_b32_f16 v2, v3, v2
	v_lshl_add_u32 v3, v26, 2, v23
	ds_write2_b32 v3, v11, v2 offset0:14 offset1:21
	s_waitcnt vmcnt(19)
	v_lshrrev_b32_e32 v2, 16, v31
	v_mul_f16_sdwa v11, v20, v2 dst_sel:DWORD dst_unused:UNUSED_PAD src0_sel:WORD_1 src1_sel:DWORD
	v_mul_f16_sdwa v13, v20, v31 dst_sel:DWORD dst_unused:UNUSED_PAD src0_sel:WORD_1 src1_sel:DWORD
	v_fma_f16 v11, v20, v31, v11
	v_fma_f16 v2, v20, v2, -v13
	v_pack_b32_f16 v2, v11, v2
	s_waitcnt vmcnt(18)
	v_lshrrev_b32_e32 v11, 16, v29
	v_mul_f16_sdwa v13, v21, v11 dst_sel:DWORD dst_unused:UNUSED_PAD src0_sel:WORD_1 src1_sel:DWORD
	v_mul_f16_sdwa v18, v21, v29 dst_sel:DWORD dst_unused:UNUSED_PAD src0_sel:WORD_1 src1_sel:DWORD
	v_fma_f16 v13, v21, v29, v13
	v_fma_f16 v11, v21, v11, -v18
	v_pack_b32_f16 v11, v13, v11
	ds_write2_b32 v3, v2, v11 offset0:28 offset1:35
	s_waitcnt vmcnt(17)
	v_lshrrev_b32_e32 v2, 16, v30
	v_mul_f16_sdwa v11, v22, v2 dst_sel:DWORD dst_unused:UNUSED_PAD src0_sel:WORD_1 src1_sel:DWORD
	v_mul_f16_sdwa v13, v22, v30 dst_sel:DWORD dst_unused:UNUSED_PAD src0_sel:WORD_1 src1_sel:DWORD
	v_fma_f16 v11, v22, v30, v11
	v_fma_f16 v2, v22, v2, -v13
	v_pack_b32_f16 v2, v11, v2
	s_waitcnt vmcnt(16)
	v_lshrrev_b32_e32 v11, 16, v32
	v_mul_f16_sdwa v13, v27, v11 dst_sel:DWORD dst_unused:UNUSED_PAD src0_sel:WORD_1 src1_sel:DWORD
	v_mul_f16_sdwa v18, v27, v32 dst_sel:DWORD dst_unused:UNUSED_PAD src0_sel:WORD_1 src1_sel:DWORD
	v_fma_f16 v13, v27, v32, v13
	v_fma_f16 v11, v27, v11, -v18
	v_pack_b32_f16 v11, v13, v11
	ds_write2_b32 v3, v2, v11 offset0:42 offset1:49
	s_waitcnt vmcnt(15)
	v_lshrrev_b32_e32 v2, 16, v0
	s_waitcnt vmcnt(14)
	v_mul_f16_sdwa v11, v5, v2 dst_sel:DWORD dst_unused:UNUSED_PAD src0_sel:WORD_1 src1_sel:DWORD
	v_fma_f16 v11, v5, v0, v11
	v_mul_f16_sdwa v0, v5, v0 dst_sel:DWORD dst_unused:UNUSED_PAD src0_sel:WORD_1 src1_sel:DWORD
	v_fma_f16 v0, v5, v2, -v0
	s_waitcnt vmcnt(13)
	v_lshrrev_b32_e32 v2, 16, v4
	s_waitcnt vmcnt(12)
	v_mul_f16_sdwa v5, v6, v2 dst_sel:DWORD dst_unused:UNUSED_PAD src0_sel:WORD_1 src1_sel:DWORD
	v_fma_f16 v5, v6, v4, v5
	v_mul_f16_sdwa v4, v6, v4 dst_sel:DWORD dst_unused:UNUSED_PAD src0_sel:WORD_1 src1_sel:DWORD
	v_fma_f16 v2, v6, v2, -v4
	v_pack_b32_f16 v0, v11, v0
	v_pack_b32_f16 v2, v5, v2
	ds_write2_b32 v3, v0, v2 offset0:56 offset1:63
	s_waitcnt vmcnt(8)
	v_lshrrev_b32_e32 v0, 16, v12
	v_mul_f16_sdwa v2, v7, v0 dst_sel:DWORD dst_unused:UNUSED_PAD src0_sel:WORD_1 src1_sel:DWORD
	v_mul_f16_sdwa v4, v7, v12 dst_sel:DWORD dst_unused:UNUSED_PAD src0_sel:WORD_1 src1_sel:DWORD
	v_fma_f16 v2, v7, v12, v2
	v_fma_f16 v0, v7, v0, -v4
	v_pack_b32_f16 v0, v2, v0
	s_waitcnt vmcnt(7)
	v_lshrrev_b32_e32 v2, 16, v14
	v_mul_f16_sdwa v4, v9, v2 dst_sel:DWORD dst_unused:UNUSED_PAD src0_sel:WORD_1 src1_sel:DWORD
	v_mul_f16_sdwa v5, v9, v14 dst_sel:DWORD dst_unused:UNUSED_PAD src0_sel:WORD_1 src1_sel:DWORD
	v_fma_f16 v4, v9, v14, v4
	v_fma_f16 v2, v9, v2, -v5
	v_pack_b32_f16 v2, v4, v2
	ds_write2_b32 v3, v0, v2 offset0:70 offset1:77
	s_waitcnt vmcnt(6)
	v_lshrrev_b32_e32 v0, 16, v16
	v_mul_f16_sdwa v2, v10, v0 dst_sel:DWORD dst_unused:UNUSED_PAD src0_sel:WORD_1 src1_sel:DWORD
	v_mul_f16_sdwa v4, v10, v16 dst_sel:DWORD dst_unused:UNUSED_PAD src0_sel:WORD_1 src1_sel:DWORD
	v_fma_f16 v2, v10, v16, v2
	v_fma_f16 v0, v10, v0, -v4
	v_pack_b32_f16 v0, v2, v0
	s_waitcnt vmcnt(5)
	v_lshrrev_b32_e32 v2, 16, v15
	s_waitcnt vmcnt(4)
	v_mul_f16_sdwa v4, v28, v2 dst_sel:DWORD dst_unused:UNUSED_PAD src0_sel:WORD_1 src1_sel:DWORD
	v_mul_f16_sdwa v5, v28, v15 dst_sel:DWORD dst_unused:UNUSED_PAD src0_sel:WORD_1 src1_sel:DWORD
	v_fma_f16 v4, v28, v15, v4
	v_fma_f16 v2, v28, v2, -v5
	v_pack_b32_f16 v2, v4, v2
	ds_write2_b32 v3, v0, v2 offset0:84 offset1:91
	s_waitcnt vmcnt(2)
	v_lshrrev_b32_e32 v0, 16, v34
	v_mul_f16_sdwa v2, v33, v0 dst_sel:DWORD dst_unused:UNUSED_PAD src0_sel:WORD_1 src1_sel:DWORD
	v_mul_f16_sdwa v4, v33, v34 dst_sel:DWORD dst_unused:UNUSED_PAD src0_sel:WORD_1 src1_sel:DWORD
	v_fma_f16 v2, v33, v34, v2
	v_fma_f16 v0, v33, v0, -v4
	v_pack_b32_f16 v0, v2, v0
	s_waitcnt vmcnt(1)
	v_lshrrev_b32_e32 v2, 16, v35
	s_waitcnt vmcnt(0)
	v_mul_f16_sdwa v4, v36, v2 dst_sel:DWORD dst_unused:UNUSED_PAD src0_sel:WORD_1 src1_sel:DWORD
	v_mul_f16_sdwa v5, v36, v35 dst_sel:DWORD dst_unused:UNUSED_PAD src0_sel:WORD_1 src1_sel:DWORD
	v_fma_f16 v4, v36, v35, v4
	v_fma_f16 v2, v36, v2, -v5
	v_pack_b32_f16 v2, v4, v2
	ds_write2_b32 v3, v0, v2 offset0:98 offset1:105
.LBB0_3:
	s_or_b64 exec, exec, s[14:15]
	s_load_dwordx2 s[2:3], s[4:5], 0x20
	s_load_dwordx2 s[0:1], s[4:5], 0x8
	v_lshlrev_b32_e32 v45, 2, v26
	s_waitcnt lgkmcnt(0)
	s_barrier
	s_waitcnt lgkmcnt(0)
                                        ; implicit-def: $vgpr16
                                        ; implicit-def: $vgpr6
                                        ; implicit-def: $vgpr4
                                        ; implicit-def: $vgpr11
                                        ; implicit-def: $vgpr0
                                        ; implicit-def: $vgpr9
                                        ; implicit-def: $vgpr2
                                        ; implicit-def: $vgpr13
                                        ; implicit-def: $vgpr15
	s_and_saveexec_b64 s[4:5], vcc
	s_cbranch_execz .LBB0_5
; %bb.4:
	v_lshlrev_b32_e32 v0, 2, v17
	v_lshl_add_u32 v13, v25, 2, v45
	ds_read_b32 v16, v0
	ds_read_b32 v15, v1 offset:28
	ds_read2_b32 v[0:1], v13 offset0:14 offset1:21
	ds_read2_b32 v[4:5], v13 offset0:28 offset1:35
	;; [unrolled: 1-line block ×7, first 2 shown]
.LBB0_5:
	s_or_b64 exec, exec, s[4:5]
	s_waitcnt lgkmcnt(3)
	v_pk_add_f16 v18, v16, v6 neg_lo:[0,1] neg_hi:[0,1]
	s_waitcnt lgkmcnt(1)
	v_pk_add_f16 v11, v4, v11 neg_lo:[0,1] neg_hi:[0,1]
	v_lshrrev_b32_e32 v6, 16, v18
	v_pk_add_f16 v9, v0, v9 neg_lo:[0,1] neg_hi:[0,1]
	s_waitcnt lgkmcnt(0)
	v_pk_add_f16 v13, v2, v13 neg_lo:[0,1] neg_hi:[0,1]
	v_add_f16_e32 v22, v11, v6
	v_sub_f16_sdwa v20, v18, v11 dst_sel:DWORD dst_unused:UNUSED_PAD src0_sel:DWORD src1_sel:WORD_1
	v_fma_f16 v27, v6, 2.0, -v22
	v_sub_f16_sdwa v28, v9, v13 dst_sel:DWORD dst_unused:UNUSED_PAD src0_sel:DWORD src1_sel:WORD_1
	v_lshrrev_b32_e32 v6, 16, v9
	v_fma_f16 v21, v18, 2.0, -v20
	v_add_f16_e32 v29, v13, v6
	s_mov_b32 s4, 0xb9a8
	v_fma_f16 v30, v9, 2.0, -v28
	v_pk_add_f16 v19, v15, v7 neg_lo:[0,1] neg_hi:[0,1]
	v_fma_f16 v7, v6, 2.0, -v29
	v_fma_f16 v6, v30, s4, v21
	v_fma_f16 v6, v7, s4, v6
	;; [unrolled: 1-line block ×3, first 2 shown]
	s_movk_i32 s5, 0x39a8
	v_pk_add_f16 v12, v5, v12 neg_lo:[0,1] neg_hi:[0,1]
	v_fma_f16 v7, v30, s5, v7
	v_fma_f16 v30, v28, s5, v20
	v_pk_fma_f16 v16, v16, 2.0, v18 op_sel_hi:[1,0,1] neg_lo:[0,0,1] neg_hi:[0,0,1]
	v_pk_fma_f16 v18, v0, 2.0, v9 op_sel_hi:[1,0,1] neg_lo:[0,0,1] neg_hi:[0,0,1]
	v_lshrrev_b32_e32 v0, 16, v19
	v_pk_add_f16 v10, v1, v10 neg_lo:[0,1] neg_hi:[0,1]
	v_pk_add_f16 v14, v3, v14 neg_lo:[0,1] neg_hi:[0,1]
	v_fma_f16 v37, v29, s4, v30
	v_fma_f16 v29, v29, s5, v22
	v_pk_fma_f16 v4, v4, 2.0, v11 op_sel_hi:[1,0,1] neg_lo:[0,0,1] neg_hi:[0,0,1]
	v_pk_fma_f16 v5, v5, 2.0, v12 op_sel_hi:[1,0,1] neg_lo:[0,0,1] neg_hi:[0,0,1]
	v_sub_f16_sdwa v11, v19, v12 dst_sel:DWORD dst_unused:UNUSED_PAD src0_sel:DWORD src1_sel:WORD_1
	v_add_f16_e32 v12, v12, v0
	v_fma_f16 v28, v28, s5, v29
	v_pk_fma_f16 v9, v1, 2.0, v10 op_sel_hi:[1,0,1] neg_lo:[0,0,1] neg_hi:[0,0,1]
	v_fma_f16 v29, v0, 2.0, -v12
	v_sub_f16_sdwa v0, v10, v14 dst_sel:DWORD dst_unused:UNUSED_PAD src0_sel:DWORD src1_sel:WORD_1
	v_lshrrev_b32_e32 v1, 16, v10
	v_pk_fma_f16 v15, v15, 2.0, v19 op_sel_hi:[1,0,1] neg_lo:[0,0,1] neg_hi:[0,0,1]
	v_fma_f16 v19, v19, 2.0, -v11
	v_pk_fma_f16 v2, v2, 2.0, v13 op_sel_hi:[1,0,1] neg_lo:[0,0,1] neg_hi:[0,0,1]
	v_add_f16_e32 v13, v14, v1
	v_fma_f16 v10, v10, 2.0, -v0
	v_pk_fma_f16 v3, v3, 2.0, v14 op_sel_hi:[1,0,1] neg_lo:[0,0,1] neg_hi:[0,0,1]
	v_fma_f16 v1, v1, 2.0, -v13
	v_fma_f16 v14, v10, s4, v19
	v_fma_f16 v14, v1, s4, v14
	;; [unrolled: 1-line block ×7, first 2 shown]
	v_pk_add_f16 v13, v18, v2 neg_lo:[0,1] neg_hi:[0,1]
	v_pk_add_f16 v2, v15, v5 neg_lo:[0,1] neg_hi:[0,1]
	v_pk_add_f16 v3, v9, v3 neg_lo:[0,1] neg_hi:[0,1]
	v_fma_f16 v36, v0, s5, v1
	v_fma_f16 v1, v27, 2.0, -v7
	v_pk_fma_f16 v27, v9, 2.0, v3 op_sel_hi:[1,0,1] neg_lo:[0,0,1] neg_hi:[0,0,1]
	v_fma_f16 v5, v19, 2.0, -v14
	v_fma_f16 v9, v29, 2.0, -v30
	v_sub_f16_sdwa v19, v2, v3 dst_sel:DWORD dst_unused:UNUSED_PAD src0_sel:DWORD src1_sel:WORD_1
	s_mov_b32 s8, 0xbb64
	v_fma_f16 v0, v21, 2.0, -v6
	v_pk_fma_f16 v15, v15, 2.0, v2 op_sel_hi:[1,0,1] neg_lo:[0,0,1] neg_hi:[0,0,1]
	v_lshrrev_b32_e32 v10, 16, v2
	v_fma_f16 v31, v2, 2.0, -v19
	s_movk_i32 s9, 0x361f
	v_fma_f16 v2, v9, s8, v1
	v_pk_add_f16 v4, v16, v4 neg_lo:[0,1] neg_hi:[0,1]
	v_fma_f16 v29, v5, s9, v2
	v_fma_f16 v2, v5, s8, v0
	s_mov_b32 s10, 0xb61f
	v_fma_f16 v9, v9, s10, v2
	v_sub_f16_sdwa v2, v4, v13 dst_sel:DWORD dst_unused:UNUSED_PAD src0_sel:DWORD src1_sel:WORD_1
	v_add_f16_e32 v21, v3, v10
	v_fma_f16 v5, v4, 2.0, -v2
	v_fma_f16 v32, v10, 2.0, -v21
	v_fma_f16 v3, v31, s4, v5
	v_pk_fma_f16 v16, v16, 2.0, v4 op_sel_hi:[1,0,1] neg_lo:[0,0,1] neg_hi:[0,0,1]
	v_lshrrev_b32_e32 v4, 16, v4
	v_fma_f16 v10, v32, s4, v3
	v_add_f16_e32 v3, v13, v4
	v_pk_fma_f16 v38, v18, 2.0, v13 op_sel_hi:[1,0,1] neg_lo:[0,0,1] neg_hi:[0,0,1]
	v_fma_f16 v18, v4, 2.0, -v3
	v_fma_f16 v4, v32, s4, v18
	v_fma_f16 v33, v31, s5, v4
	s_movk_i32 s11, 0x3b64
	v_fma_f16 v4, v30, s9, v7
	v_fma_f16 v31, v14, s11, v4
	;; [unrolled: 1-line block ×8, first 2 shown]
	v_fma_f16 v4, v11, 2.0, -v34
	v_fma_f16 v11, v12, 2.0, -v36
	v_fma_f16 v12, v34, s11, v37
	v_fma_f16 v32, v36, s10, v12
	;; [unrolled: 1-line block ×4, first 2 shown]
	v_fma_f16 v22, v22, 2.0, -v28
	v_pk_add_f16 v12, v15, v27 neg_lo:[0,1] neg_hi:[0,1]
	v_fma_f16 v21, v20, 2.0, -v37
	v_pk_add_f16 v19, v16, v38 neg_lo:[0,1] neg_hi:[0,1]
	v_pk_fma_f16 v27, v15, 2.0, v12 op_sel_hi:[1,0,1] neg_lo:[0,0,1] neg_hi:[0,0,1]
	v_fma_f16 v15, v11, s10, v22
	v_pk_fma_f16 v20, v16, 2.0, v19 op_sel_hi:[1,0,1] neg_lo:[0,0,1] neg_hi:[0,0,1]
	v_fma_f16 v36, v4, s11, v15
	v_fma_f16 v4, v4, s10, v21
	;; [unrolled: 1-line block ×3, first 2 shown]
	v_pk_add_f16 v16, v19, v12 op_sel:[0,1] op_sel_hi:[1,0] neg_lo:[0,1] neg_hi:[0,1]
	v_pk_add_f16 v12, v19, v12 op_sel:[0,1] op_sel_hi:[1,0]
	v_fma_f16 v30, v28, 2.0, -v34
	v_fma_f16 v11, v37, 2.0, -v32
	v_lshlrev_b32_e32 v28, 4, v25
	v_pk_add_f16 v4, v20, v27 neg_lo:[0,1] neg_hi:[0,1]
	s_barrier
	s_and_saveexec_b64 s[4:5], vcc
	s_cbranch_execz .LBB0_7
; %bb.6:
	v_fma_f16 v5, v5, 2.0, -v10
	v_fma_f16 v18, v18, 2.0, -v33
	s_mov_b32 s8, 0xffff
	v_fma_f16 v0, v0, 2.0, -v9
	v_fma_f16 v1, v1, 2.0, -v29
	;; [unrolled: 1-line block ×4, first 2 shown]
	v_pack_b32_f16 v39, v5, v18
	v_pack_b32_f16 v38, v0, v1
	v_bfi_b32 v0, s8, v16, v12
	v_fma_f16 v1, v2, 2.0, -v14
	v_fma_f16 v2, v3, 2.0, -v35
	;; [unrolled: 1-line block ×4, first 2 shown]
	s_mov_b32 s8, 0x5040100
	v_pack_b32_f16 v40, v21, v22
	v_add_lshl_u32 v22, v26, v28, 2
	v_pk_fma_f16 v37, v20, 2.0, v4 op_sel_hi:[1,0,1] neg_lo:[0,0,1] neg_hi:[0,0,1]
	v_pk_fma_f16 v18, v19, 2.0, v0 op_sel_hi:[1,0,1] neg_lo:[0,0,1] neg_hi:[0,0,1]
	v_pack_b32_f16 v20, v1, v2
	v_pack_b32_f16 v19, v3, v5
	v_perm_b32 v21, v30, v11, s8
	v_perm_b32 v7, v36, v15, s8
	;; [unrolled: 1-line block ×7, first 2 shown]
	ds_write_b128 v22, v[37:40]
	ds_write_b128 v22, v[18:21] offset:16
	ds_write_b128 v22, v[4:7] offset:32
	;; [unrolled: 1-line block ×3, first 2 shown]
.LBB0_7:
	s_or_b64 exec, exec, s[4:5]
	v_mul_u32_u24_e32 v0, 6, v25
	v_lshlrev_b32_e32 v7, 2, v0
	s_load_dwordx4 s[8:11], s[2:3], 0x0
	s_waitcnt lgkmcnt(0)
	s_barrier
	global_load_dwordx4 v[0:3], v7, s[0:1]
	global_load_dwordx2 v[5:6], v7, s[0:1] offset:16
	v_lshlrev_b32_e32 v27, 2, v17
	ds_read2_b32 v[17:18], v27 offset1:16
	ds_read2_b32 v[19:20], v27 offset0:32 offset1:48
	ds_read2_b32 v[21:22], v27 offset0:64 offset1:80
	ds_read_b32 v7, v27 offset:384
	s_movk_i32 s0, 0x2b26
	s_mov_b32 s2, 0xbcab
	s_waitcnt lgkmcnt(3)
	v_lshrrev_b32_e32 v37, 16, v18
	s_waitcnt lgkmcnt(2)
	v_lshrrev_b32_e32 v38, 16, v19
	;; [unrolled: 2-line block ×4, first 2 shown]
	v_lshrrev_b32_e32 v39, 16, v20
	v_lshrrev_b32_e32 v40, 16, v21
	s_movk_i32 s1, 0x3b00
	s_waitcnt vmcnt(1)
	v_mul_f16_sdwa v43, v37, v0 dst_sel:DWORD dst_unused:UNUSED_PAD src0_sel:DWORD src1_sel:WORD_1
	v_mul_f16_sdwa v44, v18, v0 dst_sel:DWORD dst_unused:UNUSED_PAD src0_sel:DWORD src1_sel:WORD_1
	;; [unrolled: 1-line block ×4, first 2 shown]
	s_waitcnt vmcnt(0)
	v_mul_f16_sdwa v52, v41, v5 dst_sel:DWORD dst_unused:UNUSED_PAD src0_sel:DWORD src1_sel:WORD_1
	v_mul_f16_sdwa v53, v22, v5 dst_sel:DWORD dst_unused:UNUSED_PAD src0_sel:DWORD src1_sel:WORD_1
	;; [unrolled: 1-line block ×8, first 2 shown]
	v_fma_f16 v18, v18, v0, -v43
	v_fma_f16 v37, v37, v0, v44
	v_fma_f16 v19, v19, v1, -v46
	v_fma_f16 v38, v38, v1, v47
	;; [unrolled: 2-line block ×6, first 2 shown]
	v_add_f16_e32 v43, v18, v7
	v_add_f16_e32 v44, v37, v42
	v_sub_f16_e32 v7, v18, v7
	v_sub_f16_e32 v18, v37, v42
	v_add_f16_e32 v37, v19, v22
	v_add_f16_e32 v42, v38, v41
	v_sub_f16_e32 v19, v19, v22
	v_sub_f16_e32 v22, v38, v41
	;; [unrolled: 4-line block ×4, first 2 shown]
	v_sub_f16_e32 v43, v43, v38
	v_sub_f16_e32 v44, v44, v41
	;; [unrolled: 1-line block ×3, first 2 shown]
	v_add_f16_e32 v37, v20, v19
	v_add_f16_e32 v39, v38, v39
	;; [unrolled: 1-line block ×3, first 2 shown]
	v_sub_f16_e32 v42, v41, v42
	v_add_f16_e32 v49, v21, v22
	v_sub_f16_e32 v50, v20, v19
	v_sub_f16_e32 v20, v7, v20
	;; [unrolled: 1-line block ×3, first 2 shown]
	v_add_f16_e32 v7, v37, v7
	v_mul_f16_e32 v41, 0x3a52, v43
	v_mul_f16_e32 v43, 0x3a52, v44
	v_add_f16_e32 v37, v17, v39
	v_add_f16_sdwa v38, v17, v40 dst_sel:DWORD dst_unused:UNUSED_PAD src0_sel:WORD_1 src1_sel:DWORD
	v_sub_f16_e32 v51, v21, v22
	v_sub_f16_e32 v21, v18, v21
	;; [unrolled: 1-line block ×3, first 2 shown]
	v_add_f16_e32 v18, v49, v18
	v_mul_f16_e32 v44, 0x2b26, v48
	v_mul_f16_e32 v49, 0x2b26, v42
	v_fma_f16 v17, v39, s2, v37
	v_fma_f16 v39, v40, s2, v38
	;; [unrolled: 1-line block ×4, first 2 shown]
	s_movk_i32 s0, 0x39e0
	v_fma_f16 v44, v46, s0, -v44
	v_fma_f16 v48, v47, s0, -v49
	s_mov_b32 s0, 0xb9e0
	v_mul_f16_e32 v50, 0xb846, v50
	v_mul_f16_e32 v51, 0xb846, v51
	v_fma_f16 v41, v46, s0, -v41
	v_fma_f16 v43, v47, s0, -v43
	s_movk_i32 s0, 0x3574
	v_mul_f16_e32 v52, 0x3b00, v19
	v_mul_f16_e32 v53, 0x3b00, v22
	v_fma_f16 v46, v20, s0, v50
	v_fma_f16 v47, v21, s0, v51
	s_mov_b32 s0, 0xb574
	v_fma_f16 v19, v19, s1, -v50
	v_fma_f16 v20, v20, s0, -v52
	;; [unrolled: 1-line block ×3, first 2 shown]
	s_movk_i32 s0, 0x370e
	v_fma_f16 v22, v22, s1, -v51
	v_add_f16_e32 v49, v40, v17
	v_add_f16_e32 v50, v42, v39
	;; [unrolled: 1-line block ×5, first 2 shown]
	v_fma_f16 v46, v7, s0, v46
	v_fma_f16 v47, v18, s0, v47
	;; [unrolled: 1-line block ×5, first 2 shown]
	v_add_f16_e32 v44, v44, v17
	v_fma_f16 v22, v18, s0, v22
	v_add_f16_e32 v17, v47, v49
	v_sub_f16_e32 v41, v50, v46
	v_add_f16_e32 v18, v21, v51
	v_sub_f16_e32 v42, v43, v7
	v_add_f16_e32 v43, v7, v43
	v_pack_b32_f16 v7, v37, v38
	v_sub_f16_e32 v19, v44, v22
	v_add_f16_e32 v40, v39, v48
	v_add_f16_e32 v20, v22, v44
	v_sub_f16_e32 v39, v48, v39
	v_add_f16_e32 v44, v46, v50
	ds_write_b32 v27, v7
	v_lshl_add_u32 v7, v25, 2, v45
	v_pack_b32_f16 v45, v17, v41
	v_pack_b32_f16 v46, v18, v42
	v_sub_f16_e32 v21, v51, v21
	v_sub_f16_e32 v22, v49, v47
	ds_write2_b32 v7, v45, v46 offset0:16 offset1:32
	v_pack_b32_f16 v45, v19, v40
	v_pack_b32_f16 v46, v20, v39
	ds_write2_b32 v7, v45, v46 offset0:48 offset1:64
	v_pack_b32_f16 v45, v21, v43
	v_pack_b32_f16 v46, v22, v44
	ds_write2_b32 v7, v45, v46 offset0:80 offset1:96
	s_waitcnt lgkmcnt(0)
	s_barrier
	s_and_saveexec_b64 s[0:1], vcc
	s_cbranch_execz .LBB0_9
; %bb.8:
	global_load_dword v47, v23, s[6:7] offset:448
	ds_read_b32 v45, v27
	s_add_u32 s2, s6, 0x1c0
	s_addc_u32 s3, s7, 0
	s_waitcnt lgkmcnt(0)
	v_lshrrev_b32_e32 v46, 16, v45
	s_waitcnt vmcnt(0)
	v_mul_f16_sdwa v48, v46, v47 dst_sel:DWORD dst_unused:UNUSED_PAD src0_sel:DWORD src1_sel:WORD_1
	v_fma_f16 v48, v45, v47, -v48
	v_mul_f16_sdwa v45, v45, v47 dst_sel:DWORD dst_unused:UNUSED_PAD src0_sel:DWORD src1_sel:WORD_1
	v_fma_f16 v45, v46, v47, v45
	v_pack_b32_f16 v45, v48, v45
	ds_write_b32 v27, v45
	ds_read2_b32 v[45:46], v7 offset0:7 offset1:14
	ds_read2_b32 v[47:48], v7 offset0:21 offset1:28
	global_load_dword v50, v23, s[2:3] offset:28
	s_waitcnt lgkmcnt(1)
	v_lshrrev_b32_e32 v49, 16, v45
	s_waitcnt vmcnt(0)
	v_mul_f16_sdwa v51, v49, v50 dst_sel:DWORD dst_unused:UNUSED_PAD src0_sel:DWORD src1_sel:WORD_1
	v_fma_f16 v51, v45, v50, -v51
	v_mul_f16_sdwa v45, v45, v50 dst_sel:DWORD dst_unused:UNUSED_PAD src0_sel:DWORD src1_sel:WORD_1
	v_fma_f16 v45, v49, v50, v45
	global_load_dword v50, v23, s[2:3] offset:56
	v_lshrrev_b32_e32 v49, 16, v46
	v_pack_b32_f16 v45, v51, v45
	s_waitcnt vmcnt(0)
	v_mul_f16_sdwa v51, v49, v50 dst_sel:DWORD dst_unused:UNUSED_PAD src0_sel:DWORD src1_sel:WORD_1
	v_fma_f16 v51, v46, v50, -v51
	v_mul_f16_sdwa v46, v46, v50 dst_sel:DWORD dst_unused:UNUSED_PAD src0_sel:DWORD src1_sel:WORD_1
	v_fma_f16 v46, v49, v50, v46
	v_pack_b32_f16 v46, v51, v46
	ds_write2_b32 v7, v45, v46 offset0:7 offset1:14
	global_load_dword v46, v23, s[2:3] offset:84
	s_waitcnt lgkmcnt(1)
	v_lshrrev_b32_e32 v45, 16, v47
	s_waitcnt vmcnt(0)
	v_mul_f16_sdwa v49, v45, v46 dst_sel:DWORD dst_unused:UNUSED_PAD src0_sel:DWORD src1_sel:WORD_1
	v_fma_f16 v49, v47, v46, -v49
	v_mul_f16_sdwa v47, v47, v46 dst_sel:DWORD dst_unused:UNUSED_PAD src0_sel:DWORD src1_sel:WORD_1
	v_fma_f16 v45, v45, v46, v47
	global_load_dword v47, v23, s[2:3] offset:112
	v_lshrrev_b32_e32 v46, 16, v48
	v_pack_b32_f16 v45, v49, v45
	s_waitcnt vmcnt(0)
	v_mul_f16_sdwa v49, v46, v47 dst_sel:DWORD dst_unused:UNUSED_PAD src0_sel:DWORD src1_sel:WORD_1
	v_fma_f16 v49, v48, v47, -v49
	v_mul_f16_sdwa v48, v48, v47 dst_sel:DWORD dst_unused:UNUSED_PAD src0_sel:DWORD src1_sel:WORD_1
	v_fma_f16 v46, v46, v47, v48
	global_load_dword v48, v23, s[2:3] offset:140
	v_pack_b32_f16 v46, v49, v46
	ds_write2_b32 v7, v45, v46 offset0:21 offset1:28
	ds_read2_b32 v[45:46], v7 offset0:35 offset1:42
	s_waitcnt lgkmcnt(0)
	v_lshrrev_b32_e32 v47, 16, v45
	s_waitcnt vmcnt(0)
	v_mul_f16_sdwa v49, v47, v48 dst_sel:DWORD dst_unused:UNUSED_PAD src0_sel:DWORD src1_sel:WORD_1
	v_fma_f16 v49, v45, v48, -v49
	v_mul_f16_sdwa v45, v45, v48 dst_sel:DWORD dst_unused:UNUSED_PAD src0_sel:DWORD src1_sel:WORD_1
	v_fma_f16 v45, v47, v48, v45
	global_load_dword v48, v23, s[2:3] offset:168
	v_lshrrev_b32_e32 v47, 16, v46
	v_pack_b32_f16 v45, v49, v45
	s_waitcnt vmcnt(0)
	v_mul_f16_sdwa v49, v47, v48 dst_sel:DWORD dst_unused:UNUSED_PAD src0_sel:DWORD src1_sel:WORD_1
	v_fma_f16 v49, v46, v48, -v49
	v_mul_f16_sdwa v46, v46, v48 dst_sel:DWORD dst_unused:UNUSED_PAD src0_sel:DWORD src1_sel:WORD_1
	v_fma_f16 v46, v47, v48, v46
	global_load_dword v48, v23, s[2:3] offset:196
	v_pack_b32_f16 v46, v49, v46
	ds_write2_b32 v7, v45, v46 offset0:35 offset1:42
	ds_read2_b32 v[45:46], v7 offset0:49 offset1:56
	;; [unrolled: 19-line block ×5, first 2 shown]
	s_waitcnt lgkmcnt(0)
	v_lshrrev_b32_e32 v47, 16, v45
	s_waitcnt vmcnt(0)
	v_mul_f16_sdwa v49, v47, v48 dst_sel:DWORD dst_unused:UNUSED_PAD src0_sel:DWORD src1_sel:WORD_1
	v_fma_f16 v49, v45, v48, -v49
	v_mul_f16_sdwa v45, v45, v48 dst_sel:DWORD dst_unused:UNUSED_PAD src0_sel:DWORD src1_sel:WORD_1
	v_fma_f16 v45, v47, v48, v45
	global_load_dword v48, v23, s[2:3] offset:392
	v_lshrrev_b32_e32 v47, 16, v46
	v_pack_b32_f16 v45, v49, v45
	s_waitcnt vmcnt(0)
	v_mul_f16_sdwa v49, v47, v48 dst_sel:DWORD dst_unused:UNUSED_PAD src0_sel:DWORD src1_sel:WORD_1
	v_fma_f16 v49, v46, v48, -v49
	v_mul_f16_sdwa v46, v46, v48 dst_sel:DWORD dst_unused:UNUSED_PAD src0_sel:DWORD src1_sel:WORD_1
	v_fma_f16 v46, v47, v48, v46
	global_load_dword v47, v23, s[2:3] offset:420
	v_pack_b32_f16 v46, v49, v46
	ds_write2_b32 v7, v45, v46 offset0:91 offset1:98
	ds_read_b32 v45, v7 offset:420
	s_waitcnt lgkmcnt(0)
	v_lshrrev_b32_e32 v46, 16, v45
	s_waitcnt vmcnt(0)
	v_mul_f16_sdwa v48, v46, v47 dst_sel:DWORD dst_unused:UNUSED_PAD src0_sel:DWORD src1_sel:WORD_1
	v_fma_f16 v48, v45, v47, -v48
	v_mul_f16_sdwa v45, v45, v47 dst_sel:DWORD dst_unused:UNUSED_PAD src0_sel:DWORD src1_sel:WORD_1
	v_fma_f16 v45, v46, v47, v45
	v_pack_b32_f16 v45, v48, v45
	ds_write_b32 v7, v45 offset:420
.LBB0_9:
	s_or_b64 exec, exec, s[0:1]
	v_lshrrev_b32_e32 v45, 16, v12
	s_waitcnt lgkmcnt(0)
	s_barrier
	s_and_saveexec_b64 s[0:1], vcc
	s_cbranch_execz .LBB0_11
; %bb.10:
	ds_read_b32 v37, v27
	ds_read2_b32 v[17:18], v7 offset0:7 offset1:14
	ds_read2_b32 v[19:20], v7 offset0:21 offset1:28
	ds_read_b32 v32, v7 offset:420
	ds_read2_b32 v[21:22], v7 offset0:35 offset1:42
	ds_read2_b32 v[11:12], v7 offset0:49 offset1:56
	;; [unrolled: 1-line block ×5, first 2 shown]
	s_waitcnt lgkmcnt(8)
	v_lshrrev_b32_e32 v38, 16, v37
	s_waitcnt lgkmcnt(7)
	v_lshrrev_b32_e32 v41, 16, v17
	v_lshrrev_b32_e32 v42, 16, v18
	s_waitcnt lgkmcnt(6)
	v_lshrrev_b32_e32 v40, 16, v19
	;; [unrolled: 3-line block ×4, first 2 shown]
	s_waitcnt lgkmcnt(2)
	v_lshrrev_b32_e32 v29, 16, v9
	v_lshrrev_b32_e32 v33, 16, v10
	s_waitcnt lgkmcnt(1)
	v_lshrrev_b32_e32 v36, 16, v15
	v_lshrrev_b32_e32 v45, 16, v16
	;; [unrolled: 3-line block ×3, first 2 shown]
	v_lshrrev_b32_e32 v34, 16, v32
	v_mov_b32_e32 v4, v12
.LBB0_11:
	s_or_b64 exec, exec, s[0:1]
	s_barrier
	s_and_saveexec_b64 s[0:1], vcc
	s_cbranch_execz .LBB0_13
; %bb.12:
	v_sub_f16_e32 v35, v44, v35
	v_sub_f16_e32 v10, v18, v10
	;; [unrolled: 1-line block ×6, first 2 shown]
	v_add_f16_e32 v46, v35, v10
	v_add_f16_e32 v48, v45, v47
	s_movk_i32 s2, 0x39a8
	v_sub_f16_sdwa v4, v38, v4 dst_sel:DWORD dst_unused:UNUSED_PAD src0_sel:DWORD src1_sel:WORD_1
	v_sub_f16_e32 v16, v20, v16
	v_sub_f16_e32 v33, v12, v14
	v_fma_f16 v49, v46, s2, v48
	v_sub_f16_e32 v36, v40, v36
	v_sub_f16_e32 v32, v11, v32
	;; [unrolled: 1-line block ×5, first 2 shown]
	v_fma_f16 v49, v33, s2, v49
	v_sub_f16_e32 v50, v36, v32
	v_sub_f16_e32 v51, v29, v13
	;; [unrolled: 1-line block ×4, first 2 shown]
	s_mov_b32 s3, 0xb9a8
	v_sub_f16_e32 v31, v43, v31
	v_sub_f16_e32 v9, v17, v9
	v_fma_f16 v59, v33, s2, v58
	v_fma_f16 v42, v42, 2.0, -v12
	v_fma_f16 v18, v18, 2.0, -v10
	;; [unrolled: 1-line block ×5, first 2 shown]
	v_add_f16_e32 v53, v34, v15
	v_add_f16_e32 v54, v31, v9
	v_fma_f16 v59, v46, s3, v59
	v_fma_f16 v35, v44, 2.0, -v35
	v_fma_f16 v37, v37, 2.0, -v47
	;; [unrolled: 1-line block ×14, first 2 shown]
	v_fma_f16 v46, v10, s3, v33
	v_fma_f16 v29, v29, 2.0, -v51
	v_fma_f16 v36, v36, 2.0, -v50
	v_fma_f16 v4, v4, 2.0, -v58
	v_sub_f16_e32 v35, v42, v35
	v_sub_f16_e32 v16, v37, v16
	;; [unrolled: 1-line block ×8, first 2 shown]
	v_fma_f16 v46, v12, s2, v46
	v_fma_f16 v47, v36, s3, v29
	v_fma_f16 v15, v15, 2.0, -v53
	v_fma_f16 v9, v9, 2.0, -v54
	v_fma_f16 v12, v12, s3, v4
	s_movk_i32 s5, 0x361f
	v_add_f16_e32 v20, v35, v16
	v_sub_f16_e32 v32, v31, v11
	v_add_f16_e32 v21, v30, v13
	v_sub_f16_e32 v22, v39, v14
	v_fma_f16 v47, v15, s3, v47
	v_fma_f16 v15, v15, s3, v9
	;; [unrolled: 1-line block ×8, first 2 shown]
	s_mov_b32 s15, 0xbb64
	v_fma_f16 v52, v53, s3, v52
	v_fma_f16 v55, v53, s2, v54
	;; [unrolled: 1-line block ×5, first 2 shown]
	v_fma_f16 v12, v37, 2.0, -v16
	v_fma_f16 v17, v17, 2.0, -v13
	;; [unrolled: 1-line block ×7, first 2 shown]
	v_fma_f16 v21, v13, s3, v16
	v_fma_f16 v22, v39, 2.0, -v22
	v_fma_f16 v55, v50, s2, v55
	s_movk_i32 s4, 0x3b64
	v_fma_f16 v21, v20, s2, v21
	v_fma_f16 v20, v20, s3, v22
	;; [unrolled: 1-line block ×5, first 2 shown]
	v_fma_f16 v14, v18, 2.0, -v14
	v_fma_f16 v18, v41, 2.0, -v31
	;; [unrolled: 1-line block ×10, first 2 shown]
	s_mov_b32 s14, 0xb61f
	v_fma_f16 v36, v15, s5, v46
	v_fma_f16 v62, v10, 2.0, -v53
	v_sub_f16_e32 v14, v12, v14
	v_sub_f16_e32 v30, v18, v30
	v_fma_f16 v38, v38, 2.0, -v39
	v_fma_f16 v35, v42, 2.0, -v35
	v_sub_f16_e32 v11, v17, v11
	v_fma_f16 v42, v48, 2.0, -v49
	v_fma_f16 v49, v54, 2.0, -v55
	v_fma_f16 v15, v9, s15, v22
	v_fma_f16 v10, v29, s15, v4
	;; [unrolled: 1-line block ×3, first 2 shown]
	v_add_f16_e32 v37, v30, v14
	v_sub_f16_e32 v35, v38, v35
	v_fma_f16 v48, v51, 2.0, -v52
	v_fma_f16 v51, v49, s14, v42
	v_fma_f16 v52, v58, 2.0, -v59
	v_fma_f16 v15, v29, s5, v15
	v_fma_f16 v29, v9, s14, v10
	v_fma_f16 v9, v12, 2.0, -v14
	v_fma_f16 v10, v17, 2.0, -v11
	;; [unrolled: 1-line block ×3, first 2 shown]
	v_sub_f16_e32 v19, v35, v11
	v_fma_f16 v51, v48, s4, v51
	v_fma_f16 v48, v48, s14, v52
	v_sub_f16_e32 v14, v9, v10
	v_fma_f16 v10, v38, 2.0, -v35
	v_fma_f16 v11, v18, 2.0, -v30
	v_fma_f16 v48, v49, s15, v48
	v_sub_f16_e32 v17, v10, v11
	v_fma_f16 v60, v55, s14, v60
	v_fma_f16 v36, v47, s4, v36
	v_fma_f16 v42, v42, 2.0, -v51
	v_fma_f16 v49, v52, 2.0, -v48
	;; [unrolled: 1-line block ×10, first 2 shown]
	v_add_lshl_u32 v18, v26, v28, 2
	v_pack_b32_f16 v12, v42, v49
	v_pack_b32_f16 v11, v16, v20
	;; [unrolled: 1-line block ×4, first 2 shown]
	ds_write_b128 v18, v[9:12]
	v_pack_b32_f16 v12, v57, v61
	v_pack_b32_f16 v11, v43, v45
	v_pack_b32_f16 v9, v40, v41
	v_pack_b32_f16 v10, v50, v62
	ds_write_b128 v18, v[9:12] offset:16
	v_pack_b32_f16 v12, v51, v48
	v_pack_b32_f16 v11, v21, v13
	v_pack_b32_f16 v9, v14, v17
	v_pack_b32_f16 v10, v15, v29
	ds_write_b128 v18, v[9:12] offset:32
	;; [unrolled: 5-line block ×3, first 2 shown]
.LBB0_13:
	s_or_b64 exec, exec, s[0:1]
	s_waitcnt lgkmcnt(0)
	s_barrier
	ds_read2_b32 v[9:10], v27 offset1:16
	ds_read2_b32 v[11:12], v27 offset0:32 offset1:48
	ds_read2_b32 v[13:14], v27 offset0:64 offset1:80
	ds_read_b32 v15, v27 offset:384
	s_movk_i32 s0, 0x2b26
	s_waitcnt lgkmcnt(3)
	v_lshrrev_b32_e32 v4, 16, v10
	v_mul_f16_sdwa v21, v0, v4 dst_sel:DWORD dst_unused:UNUSED_PAD src0_sel:WORD_1 src1_sel:DWORD
	s_waitcnt lgkmcnt(2)
	v_lshrrev_b32_e32 v16, 16, v11
	v_fma_f16 v21, v0, v10, v21
	v_mul_f16_sdwa v10, v0, v10 dst_sel:DWORD dst_unused:UNUSED_PAD src0_sel:WORD_1 src1_sel:DWORD
	v_lshrrev_b32_e32 v17, 16, v12
	v_fma_f16 v0, v0, v4, -v10
	v_mul_f16_sdwa v4, v1, v16 dst_sel:DWORD dst_unused:UNUSED_PAD src0_sel:WORD_1 src1_sel:DWORD
	v_mul_f16_sdwa v10, v1, v11 dst_sel:DWORD dst_unused:UNUSED_PAD src0_sel:WORD_1 src1_sel:DWORD
	s_waitcnt lgkmcnt(1)
	v_lshrrev_b32_e32 v18, 16, v13
	v_fma_f16 v4, v1, v11, v4
	v_fma_f16 v1, v1, v16, -v10
	v_mul_f16_sdwa v10, v2, v17 dst_sel:DWORD dst_unused:UNUSED_PAD src0_sel:WORD_1 src1_sel:DWORD
	v_mul_f16_sdwa v11, v2, v12 dst_sel:DWORD dst_unused:UNUSED_PAD src0_sel:WORD_1 src1_sel:DWORD
	v_lshrrev_b32_e32 v19, 16, v14
	v_fma_f16 v10, v2, v12, v10
	v_fma_f16 v2, v2, v17, -v11
	v_mul_f16_sdwa v11, v3, v18 dst_sel:DWORD dst_unused:UNUSED_PAD src0_sel:WORD_1 src1_sel:DWORD
	v_mul_f16_sdwa v12, v3, v13 dst_sel:DWORD dst_unused:UNUSED_PAD src0_sel:WORD_1 src1_sel:DWORD
	s_waitcnt lgkmcnt(0)
	v_lshrrev_b32_e32 v20, 16, v15
	v_fma_f16 v11, v3, v13, v11
	v_fma_f16 v3, v3, v18, -v12
	v_mul_f16_sdwa v12, v5, v19 dst_sel:DWORD dst_unused:UNUSED_PAD src0_sel:WORD_1 src1_sel:DWORD
	v_mul_f16_sdwa v13, v5, v14 dst_sel:DWORD dst_unused:UNUSED_PAD src0_sel:WORD_1 src1_sel:DWORD
	v_fma_f16 v12, v5, v14, v12
	v_fma_f16 v5, v5, v19, -v13
	v_mul_f16_sdwa v13, v6, v20 dst_sel:DWORD dst_unused:UNUSED_PAD src0_sel:WORD_1 src1_sel:DWORD
	v_mul_f16_sdwa v14, v6, v15 dst_sel:DWORD dst_unused:UNUSED_PAD src0_sel:WORD_1 src1_sel:DWORD
	v_fma_f16 v13, v6, v15, v13
	v_fma_f16 v6, v6, v20, -v14
	v_add_f16_e32 v14, v21, v13
	v_add_f16_e32 v15, v0, v6
	v_sub_f16_e32 v0, v0, v6
	v_add_f16_e32 v6, v4, v12
	v_add_f16_e32 v16, v1, v5
	v_sub_f16_e32 v4, v4, v12
	v_sub_f16_e32 v1, v1, v5
	v_add_f16_e32 v5, v10, v11
	v_add_f16_e32 v12, v2, v3
	v_sub_f16_e32 v10, v11, v10
	v_sub_f16_e32 v13, v21, v13
	;; [unrolled: 1-line block ×3, first 2 shown]
	v_add_f16_e32 v3, v6, v14
	v_add_f16_e32 v11, v16, v15
	v_sub_f16_e32 v17, v6, v14
	v_sub_f16_e32 v18, v16, v15
	;; [unrolled: 1-line block ×4, first 2 shown]
	v_add_f16_e32 v19, v10, v4
	v_sub_f16_e32 v6, v5, v6
	v_sub_f16_e32 v16, v12, v16
	;; [unrolled: 1-line block ×5, first 2 shown]
	v_add_f16_e32 v3, v5, v3
	v_add_f16_e32 v5, v12, v11
	;; [unrolled: 1-line block ×3, first 2 shown]
	v_mul_f16_e32 v13, 0x3a52, v14
	v_mul_f16_e32 v14, 0x3a52, v15
	;; [unrolled: 1-line block ×4, first 2 shown]
	v_fma_f16 v6, v6, s0, v13
	v_fma_f16 v16, v16, s0, v14
	s_movk_i32 s0, 0x39e0
	v_add_f16_e32 v20, v2, v1
	v_sub_f16_e32 v22, v2, v1
	v_fma_f16 v15, v17, s0, -v15
	v_fma_f16 v19, v18, s0, -v19
	s_mov_b32 s0, 0xb9e0
	v_sub_f16_e32 v2, v0, v2
	v_sub_f16_e32 v1, v1, v0
	v_add_f16_e32 v0, v20, v0
	v_mul_f16_e32 v20, 0x3846, v21
	v_mul_f16_e32 v21, 0x3846, v22
	v_fma_f16 v13, v17, s0, -v13
	v_fma_f16 v14, v18, s0, -v14
	s_mov_b32 s0, 0xb574
	v_add_f16_e32 v12, v9, v3
	v_add_f16_sdwa v9, v9, v5 dst_sel:DWORD dst_unused:UNUSED_PAD src0_sel:WORD_1 src1_sel:DWORD
	s_mov_b32 s1, 0xbb00
	v_mul_f16_e32 v22, 0xbb00, v4
	v_mul_f16_e32 v26, 0xbb00, v1
	s_mov_b32 s2, 0xbcab
	v_fma_f16 v17, v10, s0, v20
	v_fma_f16 v18, v2, s0, v21
	s_movk_i32 s0, 0x3574
	v_fma_f16 v3, v3, s2, v12
	v_fma_f16 v5, v5, s2, v9
	v_fma_f16 v1, v1, s1, -v21
	v_fma_f16 v10, v10, s0, -v22
	v_fma_f16 v2, v2, s0, -v26
	s_mov_b32 s0, 0xb70e
	v_fma_f16 v4, v4, s1, -v20
	v_add_f16_e32 v6, v6, v3
	v_add_f16_e32 v16, v16, v5
	;; [unrolled: 1-line block ×6, first 2 shown]
	v_fma_f16 v13, v11, s0, v17
	v_fma_f16 v14, v0, s0, v18
	;; [unrolled: 1-line block ×6, first 2 shown]
	v_add_f16_e32 v2, v14, v6
	v_sub_f16_e32 v11, v16, v13
	v_add_f16_e32 v17, v0, v3
	v_sub_f16_e32 v18, v5, v10
	v_pack_b32_f16 v9, v12, v9
	v_sub_f16_e32 v20, v15, v1
	v_add_f16_e32 v21, v4, v19
	v_add_f16_e32 v1, v1, v15
	v_sub_f16_e32 v4, v19, v4
	ds_write_b32 v27, v9
	v_pack_b32_f16 v2, v2, v11
	v_pack_b32_f16 v9, v17, v18
	v_sub_f16_e32 v0, v3, v0
	v_add_f16_e32 v3, v10, v5
	v_sub_f16_e32 v5, v6, v14
	v_add_f16_e32 v6, v13, v16
	ds_write2_b32 v7, v2, v9 offset0:16 offset1:32
	v_pack_b32_f16 v2, v20, v21
	v_pack_b32_f16 v1, v1, v4
	ds_write2_b32 v7, v2, v1 offset0:48 offset1:64
	v_pack_b32_f16 v0, v0, v3
	v_pack_b32_f16 v1, v5, v6
	ds_write2_b32 v7, v0, v1 offset0:80 offset1:96
	s_waitcnt lgkmcnt(0)
	s_barrier
	s_and_b64 exec, exec, vcc
	s_cbranch_execz .LBB0_15
; %bb.14:
	global_load_dword v10, v23, s[6:7]
	global_load_dword v9, v23, s[6:7] offset:28
	v_mad_u64_u32 v[2:3], s[0:1], s10, v8, 0
	v_mad_u64_u32 v[4:5], s[0:1], s8, v25, 0
	ds_read2_b32 v[0:1], v7 offset0:7 offset1:14
	global_load_dword v11, v23, s[6:7] offset:56
	global_load_dword v12, v23, s[6:7] offset:84
	;; [unrolled: 1-line block ×6, first 2 shown]
	ds_read_b32 v18, v27
	ds_read_b32 v17, v7 offset:420
	v_mad_u64_u32 v[19:20], s[0:1], s11, v8, v[3:4]
	v_mov_b32_e32 v6, 0x7c00
	s_waitcnt lgkmcnt(1)
	v_lshrrev_b32_e32 v3, 16, v18
	v_mad_u64_u32 v[25:26], s[0:1], s9, v25, v[5:6]
	s_mov_b32 s14, 0x92492492
	s_mov_b32 s15, 0x3f824924
	s_movk_i32 s18, 0x1ff
	s_movk_i32 s17, 0xffe
	v_mov_b32_e32 v5, v25
	s_movk_i32 s16, 0x40f
	s_mov_b32 s10, 0x8000
	v_lshlrev_b64 v[4:5], 2, v[4:5]
	s_waitcnt vmcnt(7)
	v_mul_f16_sdwa v8, v3, v10 dst_sel:DWORD dst_unused:UNUSED_PAD src0_sel:DWORD src1_sel:WORD_1
	v_fma_f16 v8, v18, v10, v8
	v_mul_f16_sdwa v18, v18, v10 dst_sel:DWORD dst_unused:UNUSED_PAD src0_sel:DWORD src1_sel:WORD_1
	v_cvt_f32_f16_e32 v8, v8
	v_fma_f16 v3, v10, v3, -v18
	v_cvt_f32_f16_e32 v3, v3
	v_cvt_f64_f32_e32 v[20:21], v8
	v_lshrrev_b32_e32 v8, 16, v0
	v_cvt_f64_f32_e32 v[26:27], v3
	v_mov_b32_e32 v3, v19
	v_mul_f64 v[20:21], v[20:21], s[14:15]
	s_waitcnt vmcnt(6)
	v_mul_f16_sdwa v10, v8, v9 dst_sel:DWORD dst_unused:UNUSED_PAD src0_sel:DWORD src1_sel:WORD_1
	v_mul_f64 v[18:19], v[26:27], s[14:15]
	v_fma_f16 v10, v0, v9, v10
	v_cvt_f32_f16_e32 v10, v10
	v_lshlrev_b64 v[2:3], 2, v[2:3]
	v_mul_f16_sdwa v0, v0, v9 dst_sel:DWORD dst_unused:UNUSED_PAD src0_sel:DWORD src1_sel:WORD_1
	v_fma_f16 v0, v9, v8, -v0
	v_and_or_b32 v20, v21, s18, v20
	v_cmp_ne_u32_e32 vcc, 0, v20
	v_and_or_b32 v18, v19, s18, v18
	v_lshrrev_b32_e32 v22, 8, v21
	v_bfe_u32 v25, v21, 20, 11
	v_cndmask_b32_e64 v20, 0, 1, vcc
	v_cmp_ne_u32_e32 vcc, 0, v18
	v_lshrrev_b32_e32 v26, 8, v19
	v_bfe_u32 v27, v19, 20, 11
	v_sub_u32_e32 v28, 0x3f1, v25
	v_cndmask_b32_e64 v18, 0, 1, vcc
	v_and_or_b32 v20, v22, s17, v20
	v_sub_u32_e32 v29, 0x3f1, v27
	v_med3_i32 v22, v28, 0, 13
	v_and_or_b32 v18, v26, s17, v18
	v_or_b32_e32 v28, 0x1000, v20
	v_add_u32_e32 v25, 0xfffffc10, v25
	v_med3_i32 v26, v29, 0, 13
	v_cmp_ne_u32_e32 vcc, 0, v20
	v_or_b32_e32 v30, 0x1000, v18
	v_lshrrev_b32_e32 v32, v22, v28
	v_add_u32_e32 v27, 0xfffffc10, v27
	v_lshl_or_b32 v29, v25, 12, v20
	v_cndmask_b32_e64 v20, 0, 1, vcc
	v_cmp_ne_u32_e32 vcc, 0, v18
	v_lshrrev_b32_e32 v33, v26, v30
	v_lshlrev_b32_e32 v22, v22, v32
	v_lshl_or_b32 v31, v27, 12, v18
	v_cndmask_b32_e64 v18, 0, 1, vcc
	v_lshlrev_b32_e32 v26, v26, v33
	v_cmp_ne_u32_e32 vcc, v22, v28
	v_cndmask_b32_e64 v22, 0, 1, vcc
	v_cmp_ne_u32_e32 vcc, v26, v30
	v_cndmask_b32_e64 v26, 0, 1, vcc
	v_or_b32_e32 v22, v32, v22
	v_cmp_gt_i32_e32 vcc, 1, v25
	v_cndmask_b32_e32 v22, v29, v22, vcc
	v_or_b32_e32 v26, v33, v26
	v_cmp_gt_i32_e32 vcc, 1, v27
	v_and_b32_e32 v28, 7, v22
	v_cndmask_b32_e32 v26, v31, v26, vcc
	v_cmp_lt_i32_e32 vcc, 5, v28
	v_cmp_eq_u32_e64 s[0:1], 3, v28
	v_lshrrev_b32_e32 v22, 2, v22
	v_and_b32_e32 v29, 7, v26
	s_or_b64 vcc, s[0:1], vcc
	v_cmp_lt_i32_e64 s[2:3], 5, v29
	v_cmp_eq_u32_e64 s[4:5], 3, v29
	v_addc_co_u32_e32 v22, vcc, 0, v22, vcc
	v_lshrrev_b32_e32 v26, 2, v26
	s_or_b64 vcc, s[4:5], s[2:3]
	v_addc_co_u32_e32 v26, vcc, 0, v26, vcc
	v_cmp_gt_i32_e32 vcc, 31, v25
	v_cndmask_b32_e32 v22, v6, v22, vcc
	v_cmp_gt_i32_e32 vcc, 31, v27
	v_lshl_or_b32 v20, v20, 9, v6
	v_cndmask_b32_e32 v26, v6, v26, vcc
	v_cmp_eq_u32_e32 vcc, s16, v25
	v_lshrrev_b32_e32 v21, 16, v21
	v_lshl_or_b32 v18, v18, 9, v6
	v_cndmask_b32_e32 v20, v22, v20, vcc
	v_cmp_eq_u32_e32 vcc, s16, v27
	v_lshrrev_b32_e32 v19, 16, v19
	v_cndmask_b32_e32 v18, v26, v18, vcc
	v_and_or_b32 v20, v21, s10, v20
	v_and_or_b32 v18, v19, s10, v18
	v_and_b32_e32 v19, 0xffff, v20
	v_lshl_or_b32 v20, v18, 16, v19
	v_cvt_f64_f32_e32 v[18:19], v10
	v_mov_b32_e32 v21, s13
	v_add_co_u32_e32 v2, vcc, s12, v2
	v_mul_f64 v[18:19], v[18:19], s[14:15]
	v_addc_co_u32_e32 v3, vcc, v21, v3, vcc
	v_add_co_u32_e32 v4, vcc, v2, v4
	v_addc_co_u32_e32 v5, vcc, v3, v5, vcc
	v_cvt_f32_f16_e32 v0, v0
	v_and_or_b32 v10, v19, s18, v18
	v_cmp_ne_u32_e32 vcc, 0, v10
	v_cndmask_b32_e64 v10, 0, 1, vcc
	v_lshrrev_b32_e32 v18, 8, v19
	v_bfe_u32 v22, v19, 20, 11
	v_and_or_b32 v10, v18, s17, v10
	v_sub_u32_e32 v25, 0x3f1, v22
	v_or_b32_e32 v18, 0x1000, v10
	v_med3_i32 v25, v25, 0, 13
	v_lshrrev_b32_e32 v26, v25, v18
	v_lshlrev_b32_e32 v25, v25, v26
	v_cvt_f64_f32_e32 v[8:9], v0
	v_cmp_ne_u32_e32 vcc, v25, v18
	v_cndmask_b32_e64 v18, 0, 1, vcc
	v_add_u32_e32 v22, 0xfffffc10, v22
	v_or_b32_e32 v18, v26, v18
	v_lshl_or_b32 v25, v22, 12, v10
	v_cmp_gt_i32_e32 vcc, 1, v22
	v_cndmask_b32_e32 v18, v25, v18, vcc
	v_mul_f64 v[8:9], v[8:9], s[14:15]
	v_and_b32_e32 v25, 7, v18
	v_cmp_lt_i32_e32 vcc, 5, v25
	v_cmp_eq_u32_e64 s[0:1], 3, v25
	v_lshrrev_b32_e32 v18, 2, v18
	s_or_b64 vcc, s[0:1], vcc
	v_addc_co_u32_e32 v0, vcc, 0, v18, vcc
	v_cmp_gt_i32_e32 vcc, 31, v22
	v_cndmask_b32_e32 v0, v6, v0, vcc
	v_cmp_ne_u32_e32 vcc, 0, v10
	v_cndmask_b32_e64 v10, 0, 1, vcc
	v_lshl_or_b32 v10, v10, 9, v6
	v_cmp_eq_u32_e32 vcc, s16, v22
	v_and_or_b32 v8, v9, s18, v8
	v_cndmask_b32_e32 v0, v0, v10, vcc
	v_lshrrev_b32_e32 v10, 16, v19
	v_cmp_ne_u32_e32 vcc, 0, v8
	v_and_or_b32 v0, v10, s10, v0
	v_cndmask_b32_e64 v8, 0, 1, vcc
	v_lshrrev_b32_e32 v10, 8, v9
	v_bfe_u32 v18, v9, 20, 11
	v_and_or_b32 v8, v10, s17, v8
	v_sub_u32_e32 v19, 0x3f1, v18
	v_or_b32_e32 v10, 0x1000, v8
	v_med3_i32 v19, v19, 0, 13
	v_lshrrev_b32_e32 v22, v19, v10
	v_lshlrev_b32_e32 v19, v19, v22
	v_cmp_ne_u32_e32 vcc, v19, v10
	v_cndmask_b32_e64 v10, 0, 1, vcc
	v_add_u32_e32 v18, 0xfffffc10, v18
	v_or_b32_e32 v10, v22, v10
	v_lshl_or_b32 v19, v18, 12, v8
	v_cmp_gt_i32_e32 vcc, 1, v18
	v_cndmask_b32_e32 v10, v19, v10, vcc
	v_and_b32_e32 v19, 7, v10
	v_cmp_lt_i32_e32 vcc, 5, v19
	v_cmp_eq_u32_e64 s[0:1], 3, v19
	v_lshrrev_b32_e32 v10, 2, v10
	s_or_b64 vcc, s[0:1], vcc
	v_addc_co_u32_e32 v10, vcc, 0, v10, vcc
	v_cmp_gt_i32_e32 vcc, 31, v18
	v_cndmask_b32_e32 v10, v6, v10, vcc
	v_cmp_ne_u32_e32 vcc, 0, v8
	v_cndmask_b32_e64 v8, 0, 1, vcc
	v_lshl_or_b32 v8, v8, 9, v6
	v_cmp_eq_u32_e32 vcc, s16, v18
	v_cndmask_b32_e32 v8, v10, v8, vcc
	v_lshrrev_b32_e32 v10, 16, v1
	s_waitcnt vmcnt(5)
	v_mul_f16_sdwa v18, v10, v11 dst_sel:DWORD dst_unused:UNUSED_PAD src0_sel:DWORD src1_sel:WORD_1
	v_fma_f16 v18, v1, v11, v18
	v_cvt_f32_f16_e32 v18, v18
	v_lshrrev_b32_e32 v9, 16, v9
	v_and_or_b32 v8, v9, s10, v8
	v_and_b32_e32 v0, 0xffff, v0
	v_lshl_or_b32 v0, v8, 16, v0
	v_cvt_f64_f32_e32 v[8:9], v18
	s_mul_i32 s0, s9, 28
	s_mul_hi_u32 s2, s8, 28
	s_add_i32 s2, s2, s0
	v_mul_f64 v[8:9], v[8:9], s[14:15]
	s_mul_i32 s3, s8, 28
	global_store_dword v[4:5], v20, off
	v_mov_b32_e32 v18, s2
	v_add_co_u32_e32 v4, vcc, s3, v4
	v_addc_co_u32_e32 v5, vcc, v5, v18, vcc
	global_store_dword v[4:5], v0, off
	v_and_or_b32 v0, v9, s18, v8
	v_cmp_ne_u32_e32 vcc, 0, v0
	v_cndmask_b32_e64 v0, 0, 1, vcc
	v_lshrrev_b32_e32 v8, 8, v9
	v_bfe_u32 v18, v9, 20, 11
	v_and_or_b32 v8, v8, s17, v0
	v_sub_u32_e32 v19, 0x3f1, v18
	v_or_b32_e32 v0, 0x1000, v8
	v_med3_i32 v19, v19, 0, 13
	v_lshrrev_b32_e32 v22, v19, v0
	v_mul_f16_sdwa v1, v1, v11 dst_sel:DWORD dst_unused:UNUSED_PAD src0_sel:DWORD src1_sel:WORD_1
	v_lshlrev_b32_e32 v19, v19, v22
	v_fma_f16 v1, v11, v10, -v1
	v_cmp_ne_u32_e32 vcc, v19, v0
	v_cvt_f32_f16_e32 v1, v1
	v_cndmask_b32_e64 v0, 0, 1, vcc
	v_add_u32_e32 v18, 0xfffffc10, v18
	v_or_b32_e32 v0, v22, v0
	v_lshl_or_b32 v19, v18, 12, v8
	v_cmp_gt_i32_e32 vcc, 1, v18
	v_cndmask_b32_e32 v0, v19, v0, vcc
	v_and_b32_e32 v19, 7, v0
	v_lshrrev_b32_e32 v10, 2, v0
	v_cvt_f64_f32_e32 v[0:1], v1
	v_cmp_lt_i32_e32 vcc, 5, v19
	v_cmp_eq_u32_e64 s[0:1], 3, v19
	s_or_b64 vcc, s[0:1], vcc
	v_mul_f64 v[0:1], v[0:1], s[14:15]
	v_addc_co_u32_e32 v10, vcc, 0, v10, vcc
	v_cmp_gt_i32_e32 vcc, 31, v18
	v_cndmask_b32_e32 v10, v6, v10, vcc
	v_cmp_ne_u32_e32 vcc, 0, v8
	v_cndmask_b32_e64 v8, 0, 1, vcc
	v_lshl_or_b32 v8, v8, 9, v6
	v_cmp_eq_u32_e32 vcc, s16, v18
	v_and_or_b32 v0, v1, s18, v0
	v_cndmask_b32_e32 v8, v10, v8, vcc
	v_lshrrev_b32_e32 v9, 16, v9
	v_cmp_ne_u32_e32 vcc, 0, v0
	v_and_or_b32 v10, v9, s10, v8
	v_cndmask_b32_e64 v0, 0, 1, vcc
	v_lshrrev_b32_e32 v8, 8, v1
	v_bfe_u32 v9, v1, 20, 11
	v_and_or_b32 v0, v8, s17, v0
	v_sub_u32_e32 v11, 0x3f1, v9
	v_or_b32_e32 v8, 0x1000, v0
	v_med3_i32 v11, v11, 0, 13
	v_lshrrev_b32_e32 v18, v11, v8
	v_lshlrev_b32_e32 v11, v11, v18
	ds_read2_b32 v[20:21], v7 offset0:21 offset1:28
	v_cmp_ne_u32_e32 vcc, v11, v8
	v_cndmask_b32_e64 v8, 0, 1, vcc
	v_add_u32_e32 v9, 0xfffffc10, v9
	v_or_b32_e32 v8, v18, v8
	v_lshl_or_b32 v11, v9, 12, v0
	v_cmp_gt_i32_e32 vcc, 1, v9
	v_cndmask_b32_e32 v8, v11, v8, vcc
	v_and_b32_e32 v11, 7, v8
	v_cmp_lt_i32_e32 vcc, 5, v11
	v_cmp_eq_u32_e64 s[0:1], 3, v11
	s_waitcnt lgkmcnt(0)
	v_lshrrev_b32_e32 v11, 16, v20
	v_lshrrev_b32_e32 v8, 2, v8
	s_or_b64 vcc, s[0:1], vcc
	s_waitcnt vmcnt(6)
	v_mul_f16_sdwa v18, v11, v12 dst_sel:DWORD dst_unused:UNUSED_PAD src0_sel:DWORD src1_sel:WORD_1
	v_addc_co_u32_e32 v8, vcc, 0, v8, vcc
	v_fma_f16 v18, v20, v12, v18
	v_cmp_gt_i32_e32 vcc, 31, v9
	v_cvt_f32_f16_e32 v18, v18
	v_cndmask_b32_e32 v8, v6, v8, vcc
	v_cmp_ne_u32_e32 vcc, 0, v0
	v_cndmask_b32_e64 v0, 0, 1, vcc
	v_lshl_or_b32 v0, v0, 9, v6
	v_cmp_eq_u32_e32 vcc, s16, v9
	v_cndmask_b32_e32 v0, v8, v0, vcc
	v_cvt_f64_f32_e32 v[8:9], v18
	v_lshrrev_b32_e32 v1, 16, v1
	v_and_or_b32 v18, v1, s10, v0
	v_add_co_u32_e32 v4, vcc, s3, v4
	v_mul_f64 v[0:1], v[8:9], s[14:15]
	v_mov_b32_e32 v9, s2
	v_and_b32_e32 v10, 0xffff, v10
	v_addc_co_u32_e32 v5, vcc, v5, v9, vcc
	v_lshl_or_b32 v8, v18, 16, v10
	global_store_dword v[4:5], v8, off
	v_and_or_b32 v0, v1, s18, v0
	v_cmp_ne_u32_e32 vcc, 0, v0
	v_cndmask_b32_e64 v0, 0, 1, vcc
	v_lshrrev_b32_e32 v8, 8, v1
	v_bfe_u32 v9, v1, 20, 11
	v_and_or_b32 v0, v8, s17, v0
	v_sub_u32_e32 v10, 0x3f1, v9
	v_or_b32_e32 v8, 0x1000, v0
	v_med3_i32 v10, v10, 0, 13
	v_lshrrev_b32_e32 v18, v10, v8
	v_lshlrev_b32_e32 v10, v10, v18
	v_cmp_ne_u32_e32 vcc, v10, v8
	v_cndmask_b32_e64 v8, 0, 1, vcc
	v_or_b32_e32 v8, v18, v8
	v_mul_f16_sdwa v18, v20, v12 dst_sel:DWORD dst_unused:UNUSED_PAD src0_sel:DWORD src1_sel:WORD_1
	v_fma_f16 v11, v12, v11, -v18
	v_add_u32_e32 v10, 0xfffffc10, v9
	v_cvt_f32_f16_e32 v11, v11
	v_lshl_or_b32 v9, v10, 12, v0
	v_cmp_gt_i32_e32 vcc, 1, v10
	v_cndmask_b32_e32 v8, v9, v8, vcc
	v_and_b32_e32 v9, 7, v8
	v_cmp_lt_i32_e32 vcc, 5, v9
	v_cmp_eq_u32_e64 s[0:1], 3, v9
	v_lshrrev_b32_e32 v12, 2, v8
	v_cvt_f64_f32_e32 v[8:9], v11
	s_or_b64 vcc, s[0:1], vcc
	v_addc_co_u32_e32 v11, vcc, 0, v12, vcc
	v_mul_f64 v[8:9], v[8:9], s[14:15]
	v_cmp_gt_i32_e32 vcc, 31, v10
	v_cndmask_b32_e32 v11, v6, v11, vcc
	v_cmp_ne_u32_e32 vcc, 0, v0
	v_cndmask_b32_e64 v0, 0, 1, vcc
	v_lshl_or_b32 v0, v0, 9, v6
	v_cmp_eq_u32_e32 vcc, s16, v10
	v_cndmask_b32_e32 v0, v11, v0, vcc
	v_lshrrev_b32_e32 v1, 16, v1
	v_and_or_b32 v10, v1, s10, v0
	v_and_or_b32 v0, v9, s18, v8
	v_cmp_ne_u32_e32 vcc, 0, v0
	v_cndmask_b32_e64 v0, 0, 1, vcc
	v_lshrrev_b32_e32 v1, 8, v9
	v_bfe_u32 v8, v9, 20, 11
	v_and_or_b32 v0, v1, s17, v0
	v_sub_u32_e32 v11, 0x3f1, v8
	v_or_b32_e32 v1, 0x1000, v0
	v_med3_i32 v11, v11, 0, 13
	v_lshrrev_b32_e32 v12, v11, v1
	v_lshlrev_b32_e32 v11, v11, v12
	v_cmp_ne_u32_e32 vcc, v11, v1
	v_cndmask_b32_e64 v1, 0, 1, vcc
	v_add_u32_e32 v8, 0xfffffc10, v8
	v_or_b32_e32 v1, v12, v1
	v_lshl_or_b32 v11, v8, 12, v0
	v_cmp_gt_i32_e32 vcc, 1, v8
	v_cndmask_b32_e32 v1, v11, v1, vcc
	v_and_b32_e32 v11, 7, v1
	v_cmp_lt_i32_e32 vcc, 5, v11
	v_cmp_eq_u32_e64 s[0:1], 3, v11
	v_lshrrev_b32_e32 v11, 16, v21
	v_lshrrev_b32_e32 v1, 2, v1
	s_or_b64 vcc, s[0:1], vcc
	s_waitcnt vmcnt(6)
	v_mul_f16_sdwa v12, v11, v13 dst_sel:DWORD dst_unused:UNUSED_PAD src0_sel:DWORD src1_sel:WORD_1
	v_addc_co_u32_e32 v1, vcc, 0, v1, vcc
	v_fma_f16 v12, v21, v13, v12
	v_cmp_gt_i32_e32 vcc, 31, v8
	v_cvt_f32_f16_e32 v12, v12
	v_cndmask_b32_e32 v1, v6, v1, vcc
	v_cmp_ne_u32_e32 vcc, 0, v0
	v_cndmask_b32_e64 v0, 0, 1, vcc
	v_lshl_or_b32 v0, v0, 9, v6
	v_cmp_eq_u32_e32 vcc, s16, v8
	v_cndmask_b32_e32 v8, v1, v0, vcc
	v_cvt_f64_f32_e32 v[0:1], v12
	v_lshrrev_b32_e32 v9, 16, v9
	v_and_or_b32 v8, v9, s10, v8
	v_and_b32_e32 v9, 0xffff, v10
	v_mul_f64 v[0:1], v[0:1], s[14:15]
	v_lshl_or_b32 v8, v8, 16, v9
	v_mov_b32_e32 v9, s2
	v_add_co_u32_e32 v4, vcc, s3, v4
	v_addc_co_u32_e32 v5, vcc, v5, v9, vcc
	global_store_dword v[4:5], v8, off
	v_and_or_b32 v0, v1, s18, v0
	v_cmp_ne_u32_e32 vcc, 0, v0
	v_cndmask_b32_e64 v0, 0, 1, vcc
	v_lshrrev_b32_e32 v8, 8, v1
	v_bfe_u32 v9, v1, 20, 11
	v_and_or_b32 v0, v8, s17, v0
	v_sub_u32_e32 v10, 0x3f1, v9
	v_or_b32_e32 v8, 0x1000, v0
	v_med3_i32 v10, v10, 0, 13
	v_lshrrev_b32_e32 v12, v10, v8
	v_lshlrev_b32_e32 v10, v10, v12
	v_cmp_ne_u32_e32 vcc, v10, v8
	v_cndmask_b32_e64 v8, 0, 1, vcc
	v_or_b32_e32 v8, v12, v8
	v_mul_f16_sdwa v12, v21, v13 dst_sel:DWORD dst_unused:UNUSED_PAD src0_sel:DWORD src1_sel:WORD_1
	v_fma_f16 v11, v13, v11, -v12
	v_add_u32_e32 v10, 0xfffffc10, v9
	v_cvt_f32_f16_e32 v11, v11
	v_lshl_or_b32 v9, v10, 12, v0
	v_cmp_gt_i32_e32 vcc, 1, v10
	v_cndmask_b32_e32 v8, v9, v8, vcc
	v_and_b32_e32 v9, 7, v8
	v_cmp_lt_i32_e32 vcc, 5, v9
	v_cmp_eq_u32_e64 s[0:1], 3, v9
	v_lshrrev_b32_e32 v12, 2, v8
	v_cvt_f64_f32_e32 v[8:9], v11
	s_or_b64 vcc, s[0:1], vcc
	v_addc_co_u32_e32 v11, vcc, 0, v12, vcc
	v_mul_f64 v[8:9], v[8:9], s[14:15]
	v_cmp_gt_i32_e32 vcc, 31, v10
	v_cndmask_b32_e32 v11, v6, v11, vcc
	v_cmp_ne_u32_e32 vcc, 0, v0
	v_cndmask_b32_e64 v0, 0, 1, vcc
	v_lshl_or_b32 v0, v0, 9, v6
	v_cmp_eq_u32_e32 vcc, s16, v10
	v_cndmask_b32_e32 v0, v11, v0, vcc
	v_lshrrev_b32_e32 v1, 16, v1
	v_and_or_b32 v12, v1, s10, v0
	v_and_or_b32 v0, v9, s18, v8
	v_cmp_ne_u32_e32 vcc, 0, v0
	v_cndmask_b32_e64 v0, 0, 1, vcc
	v_lshrrev_b32_e32 v1, 8, v9
	v_and_or_b32 v8, v1, s17, v0
	v_bfe_u32 v1, v9, 20, 11
	v_sub_u32_e32 v10, 0x3f1, v1
	v_or_b32_e32 v0, 0x1000, v8
	v_med3_i32 v10, v10, 0, 13
	v_lshrrev_b32_e32 v11, v10, v0
	v_lshlrev_b32_e32 v10, v10, v11
	v_cmp_ne_u32_e32 vcc, v10, v0
	v_cndmask_b32_e64 v0, 0, 1, vcc
	v_add_u32_e32 v10, 0xfffffc10, v1
	v_or_b32_e32 v0, v11, v0
	v_lshl_or_b32 v1, v10, 12, v8
	v_cmp_gt_i32_e32 vcc, 1, v10
	v_cndmask_b32_e32 v0, v1, v0, vcc
	v_and_b32_e32 v1, 7, v0
	v_cmp_lt_i32_e32 vcc, 5, v1
	v_cmp_eq_u32_e64 s[0:1], 3, v1
	v_lshrrev_b32_e32 v0, 2, v0
	s_or_b64 vcc, s[0:1], vcc
	v_addc_co_u32_e32 v11, vcc, 0, v0, vcc
	ds_read2_b32 v[0:1], v7 offset0:35 offset1:42
	v_cmp_gt_i32_e32 vcc, 31, v10
	v_cndmask_b32_e32 v11, v6, v11, vcc
	v_cmp_ne_u32_e32 vcc, 0, v8
	v_cndmask_b32_e64 v8, 0, 1, vcc
	s_waitcnt lgkmcnt(0)
	v_lshrrev_b32_e32 v13, 16, v0
	s_waitcnt vmcnt(6)
	v_mul_f16_sdwa v18, v13, v14 dst_sel:DWORD dst_unused:UNUSED_PAD src0_sel:DWORD src1_sel:WORD_1
	v_fma_f16 v18, v0, v14, v18
	v_cvt_f32_f16_e32 v18, v18
	v_lshl_or_b32 v8, v8, 9, v6
	v_cmp_eq_u32_e32 vcc, s16, v10
	v_cndmask_b32_e32 v8, v11, v8, vcc
	v_cvt_f64_f32_e32 v[10:11], v18
	v_lshrrev_b32_e32 v9, 16, v9
	v_and_or_b32 v18, v9, s10, v8
	v_add_co_u32_e32 v4, vcc, s3, v4
	v_mul_f64 v[8:9], v[10:11], s[14:15]
	v_mov_b32_e32 v11, s2
	v_and_b32_e32 v12, 0xffff, v12
	v_addc_co_u32_e32 v5, vcc, v5, v11, vcc
	v_lshl_or_b32 v10, v18, 16, v12
	global_store_dword v[4:5], v10, off
	v_mul_f16_sdwa v0, v0, v14 dst_sel:DWORD dst_unused:UNUSED_PAD src0_sel:DWORD src1_sel:WORD_1
	v_and_or_b32 v8, v9, s18, v8
	v_cmp_ne_u32_e32 vcc, 0, v8
	v_cndmask_b32_e64 v8, 0, 1, vcc
	v_lshrrev_b32_e32 v10, 8, v9
	v_bfe_u32 v11, v9, 20, 11
	v_and_or_b32 v8, v10, s17, v8
	v_sub_u32_e32 v12, 0x3f1, v11
	v_or_b32_e32 v10, 0x1000, v8
	v_med3_i32 v12, v12, 0, 13
	v_lshrrev_b32_e32 v18, v12, v10
	v_lshlrev_b32_e32 v12, v12, v18
	v_cmp_ne_u32_e32 vcc, v12, v10
	v_fma_f16 v0, v14, v13, -v0
	v_cndmask_b32_e64 v10, 0, 1, vcc
	v_add_u32_e32 v12, 0xfffffc10, v11
	v_cvt_f32_f16_e32 v0, v0
	v_or_b32_e32 v10, v18, v10
	v_lshl_or_b32 v11, v12, 12, v8
	v_cmp_gt_i32_e32 vcc, 1, v12
	v_cndmask_b32_e32 v10, v11, v10, vcc
	v_and_b32_e32 v11, 7, v10
	v_cmp_lt_i32_e32 vcc, 5, v11
	v_cmp_eq_u32_e64 s[0:1], 3, v11
	v_lshrrev_b32_e32 v13, 2, v10
	v_cvt_f64_f32_e32 v[10:11], v0
	s_or_b64 vcc, s[0:1], vcc
	v_addc_co_u32_e32 v0, vcc, 0, v13, vcc
	v_mul_f64 v[10:11], v[10:11], s[14:15]
	v_cmp_gt_i32_e32 vcc, 31, v12
	v_cndmask_b32_e32 v0, v6, v0, vcc
	v_cmp_ne_u32_e32 vcc, 0, v8
	v_cndmask_b32_e64 v8, 0, 1, vcc
	v_lshl_or_b32 v8, v8, 9, v6
	v_cmp_eq_u32_e32 vcc, s16, v12
	v_cndmask_b32_e32 v0, v0, v8, vcc
	v_lshrrev_b32_e32 v8, 16, v9
	v_and_or_b32 v0, v8, s10, v0
	v_and_or_b32 v8, v11, s18, v10
	v_cmp_ne_u32_e32 vcc, 0, v8
	v_cndmask_b32_e64 v8, 0, 1, vcc
	v_lshrrev_b32_e32 v9, 8, v11
	v_bfe_u32 v10, v11, 20, 11
	v_and_or_b32 v8, v9, s17, v8
	v_sub_u32_e32 v12, 0x3f1, v10
	v_or_b32_e32 v9, 0x1000, v8
	v_med3_i32 v12, v12, 0, 13
	v_lshrrev_b32_e32 v13, v12, v9
	v_lshlrev_b32_e32 v12, v12, v13
	v_cmp_ne_u32_e32 vcc, v12, v9
	v_cndmask_b32_e64 v9, 0, 1, vcc
	v_add_u32_e32 v10, 0xfffffc10, v10
	v_or_b32_e32 v9, v13, v9
	v_lshl_or_b32 v12, v10, 12, v8
	v_cmp_gt_i32_e32 vcc, 1, v10
	v_cndmask_b32_e32 v9, v12, v9, vcc
	v_and_b32_e32 v12, 7, v9
	v_cmp_lt_i32_e32 vcc, 5, v12
	v_cmp_eq_u32_e64 s[0:1], 3, v12
	v_lshrrev_b32_e32 v12, 16, v1
	v_lshrrev_b32_e32 v9, 2, v9
	s_or_b64 vcc, s[0:1], vcc
	s_waitcnt vmcnt(6)
	v_mul_f16_sdwa v13, v12, v15 dst_sel:DWORD dst_unused:UNUSED_PAD src0_sel:DWORD src1_sel:WORD_1
	v_addc_co_u32_e32 v9, vcc, 0, v9, vcc
	v_fma_f16 v13, v1, v15, v13
	v_cmp_gt_i32_e32 vcc, 31, v10
	v_cvt_f32_f16_e32 v13, v13
	v_cndmask_b32_e32 v9, v6, v9, vcc
	v_cmp_ne_u32_e32 vcc, 0, v8
	v_cndmask_b32_e64 v8, 0, 1, vcc
	v_lshl_or_b32 v8, v8, 9, v6
	v_cmp_eq_u32_e32 vcc, s16, v10
	v_cndmask_b32_e32 v10, v9, v8, vcc
	v_cvt_f64_f32_e32 v[8:9], v13
	v_lshrrev_b32_e32 v11, 16, v11
	v_and_or_b32 v10, v11, s10, v10
	v_and_b32_e32 v0, 0xffff, v0
	v_mul_f64 v[8:9], v[8:9], s[14:15]
	v_lshl_or_b32 v0, v10, 16, v0
	v_mov_b32_e32 v10, s2
	v_add_co_u32_e32 v4, vcc, s3, v4
	v_addc_co_u32_e32 v5, vcc, v5, v10, vcc
	global_store_dword v[4:5], v0, off
	v_and_or_b32 v0, v9, s18, v8
	v_cmp_ne_u32_e32 vcc, 0, v0
	v_cndmask_b32_e64 v0, 0, 1, vcc
	v_lshrrev_b32_e32 v8, 8, v9
	v_bfe_u32 v10, v9, 20, 11
	v_and_or_b32 v8, v8, s17, v0
	v_sub_u32_e32 v11, 0x3f1, v10
	v_or_b32_e32 v0, 0x1000, v8
	v_med3_i32 v11, v11, 0, 13
	v_lshrrev_b32_e32 v13, v11, v0
	v_lshlrev_b32_e32 v11, v11, v13
	v_mul_f16_sdwa v1, v1, v15 dst_sel:DWORD dst_unused:UNUSED_PAD src0_sel:DWORD src1_sel:WORD_1
	v_cmp_ne_u32_e32 vcc, v11, v0
	v_fma_f16 v1, v15, v12, -v1
	v_cndmask_b32_e64 v0, 0, 1, vcc
	v_add_u32_e32 v10, 0xfffffc10, v10
	v_cvt_f32_f16_e32 v1, v1
	v_or_b32_e32 v0, v13, v0
	v_lshl_or_b32 v11, v10, 12, v8
	v_cmp_gt_i32_e32 vcc, 1, v10
	v_cndmask_b32_e32 v0, v11, v0, vcc
	v_and_b32_e32 v11, 7, v0
	v_cmp_lt_i32_e32 vcc, 5, v11
	v_cmp_eq_u32_e64 s[0:1], 3, v11
	v_lshrrev_b32_e32 v11, 2, v0
	v_cvt_f64_f32_e32 v[0:1], v1
	s_or_b64 vcc, s[0:1], vcc
	v_addc_co_u32_e32 v11, vcc, 0, v11, vcc
	v_mul_f64 v[0:1], v[0:1], s[14:15]
	v_cmp_gt_i32_e32 vcc, 31, v10
	v_cndmask_b32_e32 v11, v6, v11, vcc
	v_cmp_ne_u32_e32 vcc, 0, v8
	v_cndmask_b32_e64 v8, 0, 1, vcc
	v_lshl_or_b32 v8, v8, 9, v6
	v_cmp_eq_u32_e32 vcc, s16, v10
	v_cndmask_b32_e32 v8, v11, v8, vcc
	v_and_or_b32 v0, v1, s18, v0
	v_lshrrev_b32_e32 v9, 16, v9
	v_cmp_ne_u32_e32 vcc, 0, v0
	v_and_or_b32 v10, v9, s10, v8
	v_cndmask_b32_e64 v0, 0, 1, vcc
	v_lshrrev_b32_e32 v8, 8, v1
	v_bfe_u32 v9, v1, 20, 11
	v_and_or_b32 v0, v8, s17, v0
	v_sub_u32_e32 v11, 0x3f1, v9
	v_or_b32_e32 v8, 0x1000, v0
	v_med3_i32 v11, v11, 0, 13
	v_lshrrev_b32_e32 v12, v11, v8
	v_lshlrev_b32_e32 v11, v11, v12
	v_cmp_ne_u32_e32 vcc, v11, v8
	v_cndmask_b32_e64 v8, 0, 1, vcc
	v_add_u32_e32 v11, 0xfffffc10, v9
	v_or_b32_e32 v8, v12, v8
	v_lshl_or_b32 v9, v11, 12, v0
	v_cmp_gt_i32_e32 vcc, 1, v11
	v_cndmask_b32_e32 v8, v9, v8, vcc
	v_and_b32_e32 v9, 7, v8
	v_cmp_lt_i32_e32 vcc, 5, v9
	v_cmp_eq_u32_e64 s[0:1], 3, v9
	v_lshrrev_b32_e32 v8, 2, v8
	s_or_b64 vcc, s[0:1], vcc
	v_addc_co_u32_e32 v12, vcc, 0, v8, vcc
	v_cmp_gt_i32_e32 vcc, 31, v11
	v_cndmask_b32_e32 v12, v6, v12, vcc
	v_cmp_ne_u32_e32 vcc, 0, v0
	v_cndmask_b32_e64 v0, 0, 1, vcc
	v_lshl_or_b32 v0, v0, 9, v6
	v_cmp_eq_u32_e32 vcc, s16, v11
	v_cndmask_b32_e32 v11, v12, v0, vcc
	v_lshrrev_b32_e32 v12, 16, v1
	v_and_or_b32 v11, v12, s10, v11
	global_load_dword v12, v23, s[6:7] offset:224
	ds_read2_b32 v[8:9], v7 offset0:49 offset1:56
	v_and_b32_e32 v10, 0xffff, v10
	v_lshl_or_b32 v10, v11, 16, v10
	v_mov_b32_e32 v11, s2
	v_add_co_u32_e32 v4, vcc, s3, v4
	s_waitcnt lgkmcnt(0)
	v_lshrrev_b32_e32 v13, 16, v8
	s_waitcnt vmcnt(7)
	v_mul_f16_sdwa v14, v13, v16 dst_sel:DWORD dst_unused:UNUSED_PAD src0_sel:DWORD src1_sel:WORD_1
	v_fma_f16 v14, v8, v16, v14
	v_cvt_f32_f16_e32 v14, v14
	v_addc_co_u32_e32 v5, vcc, v5, v11, vcc
	global_store_dword v[4:5], v10, off
	v_cvt_f64_f32_e32 v[0:1], v14
	v_mul_f16_sdwa v8, v8, v16 dst_sel:DWORD dst_unused:UNUSED_PAD src0_sel:DWORD src1_sel:WORD_1
	v_fma_f16 v8, v16, v13, -v8
	v_cvt_f32_f16_e32 v8, v8
	v_mul_f64 v[0:1], v[0:1], s[14:15]
	v_and_or_b32 v0, v1, s18, v0
	v_cmp_ne_u32_e32 vcc, 0, v0
	v_cndmask_b32_e64 v0, 0, 1, vcc
	v_lshrrev_b32_e32 v10, 8, v1
	v_bfe_u32 v11, v1, 20, 11
	v_and_or_b32 v0, v10, s17, v0
	v_sub_u32_e32 v14, 0x3f1, v11
	v_or_b32_e32 v10, 0x1000, v0
	v_med3_i32 v14, v14, 0, 13
	v_lshrrev_b32_e32 v15, v14, v10
	v_lshlrev_b32_e32 v14, v14, v15
	v_cmp_ne_u32_e32 vcc, v14, v10
	v_cndmask_b32_e64 v10, 0, 1, vcc
	v_add_u32_e32 v14, 0xfffffc10, v11
	v_or_b32_e32 v10, v15, v10
	v_lshl_or_b32 v11, v14, 12, v0
	v_cmp_gt_i32_e32 vcc, 1, v14
	v_cndmask_b32_e32 v10, v11, v10, vcc
	v_and_b32_e32 v11, 7, v10
	v_cmp_lt_i32_e32 vcc, 5, v11
	v_cmp_eq_u32_e64 s[0:1], 3, v11
	v_lshrrev_b32_e32 v13, 2, v10
	v_cvt_f64_f32_e32 v[10:11], v8
	s_or_b64 vcc, s[0:1], vcc
	v_addc_co_u32_e32 v8, vcc, 0, v13, vcc
	v_mul_f64 v[10:11], v[10:11], s[14:15]
	v_cmp_gt_i32_e32 vcc, 31, v14
	v_cndmask_b32_e32 v8, v6, v8, vcc
	v_cmp_ne_u32_e32 vcc, 0, v0
	v_cndmask_b32_e64 v0, 0, 1, vcc
	v_lshl_or_b32 v0, v0, 9, v6
	v_cmp_eq_u32_e32 vcc, s16, v14
	v_cndmask_b32_e32 v0, v8, v0, vcc
	v_lshrrev_b32_e32 v1, 16, v1
	v_and_or_b32 v8, v1, s10, v0
	v_and_or_b32 v0, v11, s18, v10
	v_cmp_ne_u32_e32 vcc, 0, v0
	v_cndmask_b32_e64 v0, 0, 1, vcc
	v_lshrrev_b32_e32 v1, 8, v11
	v_bfe_u32 v10, v11, 20, 11
	v_and_or_b32 v0, v1, s17, v0
	v_sub_u32_e32 v13, 0x3f1, v10
	v_or_b32_e32 v1, 0x1000, v0
	v_med3_i32 v13, v13, 0, 13
	v_lshrrev_b32_e32 v14, v13, v1
	v_lshlrev_b32_e32 v13, v13, v14
	v_cmp_ne_u32_e32 vcc, v13, v1
	v_cndmask_b32_e64 v1, 0, 1, vcc
	v_or_b32_e32 v1, v14, v1
	global_load_dword v14, v23, s[6:7] offset:252
	global_load_dword v15, v23, s[6:7] offset:280
	global_load_dword v16, v23, s[6:7] offset:308
	global_load_dword v18, v23, s[6:7] offset:336
	v_add_u32_e32 v10, 0xfffffc10, v10
	v_lshl_or_b32 v13, v10, 12, v0
	v_cmp_gt_i32_e32 vcc, 1, v10
	v_cndmask_b32_e32 v1, v13, v1, vcc
	v_and_b32_e32 v13, 7, v1
	v_cmp_lt_i32_e32 vcc, 5, v13
	v_cmp_eq_u32_e64 s[0:1], 3, v13
	v_lshrrev_b32_e32 v13, 16, v9
	v_lshrrev_b32_e32 v1, 2, v1
	s_or_b64 vcc, s[0:1], vcc
	s_waitcnt vmcnt(5)
	v_mul_f16_sdwa v19, v13, v12 dst_sel:DWORD dst_unused:UNUSED_PAD src0_sel:DWORD src1_sel:WORD_1
	v_addc_co_u32_e32 v1, vcc, 0, v1, vcc
	v_fma_f16 v19, v9, v12, v19
	v_cmp_gt_i32_e32 vcc, 31, v10
	v_cvt_f32_f16_e32 v19, v19
	v_cndmask_b32_e32 v1, v6, v1, vcc
	v_cmp_ne_u32_e32 vcc, 0, v0
	v_cndmask_b32_e64 v0, 0, 1, vcc
	v_lshl_or_b32 v0, v0, 9, v6
	v_cmp_eq_u32_e32 vcc, s16, v10
	v_cndmask_b32_e32 v10, v1, v0, vcc
	v_cvt_f64_f32_e32 v[0:1], v19
	v_lshrrev_b32_e32 v11, 16, v11
	v_and_or_b32 v10, v11, s10, v10
	v_and_b32_e32 v8, 0xffff, v8
	v_mul_f64 v[0:1], v[0:1], s[14:15]
	v_lshl_or_b32 v8, v10, 16, v8
	v_mov_b32_e32 v10, s2
	v_add_co_u32_e32 v4, vcc, s3, v4
	v_addc_co_u32_e32 v5, vcc, v5, v10, vcc
	global_store_dword v[4:5], v8, off
	v_and_or_b32 v0, v1, s18, v0
	v_cmp_ne_u32_e32 vcc, 0, v0
	v_cndmask_b32_e64 v0, 0, 1, vcc
	v_lshrrev_b32_e32 v8, 8, v1
	v_bfe_u32 v10, v1, 20, 11
	v_and_or_b32 v0, v8, s17, v0
	v_sub_u32_e32 v11, 0x3f1, v10
	v_or_b32_e32 v8, 0x1000, v0
	v_med3_i32 v11, v11, 0, 13
	v_lshrrev_b32_e32 v19, v11, v8
	v_lshlrev_b32_e32 v11, v11, v19
	v_mul_f16_sdwa v9, v9, v12 dst_sel:DWORD dst_unused:UNUSED_PAD src0_sel:DWORD src1_sel:WORD_1
	v_cmp_ne_u32_e32 vcc, v11, v8
	v_fma_f16 v9, v12, v13, -v9
	v_cndmask_b32_e64 v8, 0, 1, vcc
	v_add_u32_e32 v10, 0xfffffc10, v10
	v_cvt_f32_f16_e32 v9, v9
	v_or_b32_e32 v8, v19, v8
	v_lshl_or_b32 v11, v10, 12, v0
	v_cmp_gt_i32_e32 vcc, 1, v10
	v_cndmask_b32_e32 v8, v11, v8, vcc
	v_and_b32_e32 v11, 7, v8
	v_cmp_lt_i32_e32 vcc, 5, v11
	v_cmp_eq_u32_e64 s[0:1], 3, v11
	v_lshrrev_b32_e32 v11, 2, v8
	v_cvt_f64_f32_e32 v[8:9], v9
	s_or_b64 vcc, s[0:1], vcc
	v_addc_co_u32_e32 v11, vcc, 0, v11, vcc
	v_mul_f64 v[8:9], v[8:9], s[14:15]
	v_cmp_gt_i32_e32 vcc, 31, v10
	v_cndmask_b32_e32 v11, v6, v11, vcc
	v_cmp_ne_u32_e32 vcc, 0, v0
	v_cndmask_b32_e64 v0, 0, 1, vcc
	v_lshl_or_b32 v0, v0, 9, v6
	v_cmp_eq_u32_e32 vcc, s16, v10
	v_cndmask_b32_e32 v0, v11, v0, vcc
	v_lshrrev_b32_e32 v1, 16, v1
	v_and_or_b32 v19, v1, s10, v0
	v_and_or_b32 v0, v9, s18, v8
	v_cmp_ne_u32_e32 vcc, 0, v0
	v_cndmask_b32_e64 v0, 0, 1, vcc
	v_lshrrev_b32_e32 v1, 8, v9
	v_bfe_u32 v8, v9, 20, 11
	v_and_or_b32 v0, v1, s17, v0
	v_sub_u32_e32 v10, 0x3f1, v8
	v_or_b32_e32 v1, 0x1000, v0
	v_med3_i32 v10, v10, 0, 13
	v_lshrrev_b32_e32 v11, v10, v1
	v_lshlrev_b32_e32 v10, v10, v11
	v_cmp_ne_u32_e32 vcc, v10, v1
	v_cndmask_b32_e64 v1, 0, 1, vcc
	v_add_u32_e32 v8, 0xfffffc10, v8
	v_or_b32_e32 v1, v11, v1
	v_lshl_or_b32 v10, v8, 12, v0
	v_cmp_gt_i32_e32 vcc, 1, v8
	v_cndmask_b32_e32 v1, v10, v1, vcc
	v_and_b32_e32 v10, 7, v1
	v_cmp_lt_i32_e32 vcc, 5, v10
	v_cmp_eq_u32_e64 s[0:1], 3, v10
	ds_read2_b32 v[10:11], v7 offset0:63 offset1:70
	v_lshrrev_b32_e32 v1, 2, v1
	s_or_b64 vcc, s[0:1], vcc
	v_addc_co_u32_e32 v1, vcc, 0, v1, vcc
	v_cmp_gt_i32_e32 vcc, 31, v8
	v_cndmask_b32_e32 v12, v6, v1, vcc
	v_cmp_ne_u32_e32 vcc, 0, v0
	s_waitcnt lgkmcnt(0)
	v_lshrrev_b32_e32 v21, 16, v10
	v_cndmask_b32_e64 v13, 0, 1, vcc
	v_cmp_eq_u32_e32 vcc, s16, v8
	s_waitcnt vmcnt(4)
	v_mul_f16_sdwa v8, v21, v14 dst_sel:DWORD dst_unused:UNUSED_PAD src0_sel:DWORD src1_sel:WORD_1
	v_fma_f16 v8, v10, v14, v8
	v_mad_u64_u32 v[0:1], s[0:1], s8, v24, 0
	v_cvt_f32_f16_e32 v8, v8
	v_lshl_or_b32 v13, v13, 9, v6
	v_cndmask_b32_e32 v20, v12, v13, vcc
	v_mad_u64_u32 v[12:13], s[0:1], s9, v24, v[1:2]
	v_lshrrev_b32_e32 v1, 16, v9
	v_cvt_f64_f32_e32 v[8:9], v8
	v_and_or_b32 v13, v1, s10, v20
	v_mov_b32_e32 v1, v12
	v_lshlrev_b64 v[0:1], 2, v[0:1]
	v_mul_f64 v[8:9], v[8:9], s[14:15]
	v_and_b32_e32 v12, 0xffff, v19
	v_add_co_u32_e32 v0, vcc, v2, v0
	v_lshl_or_b32 v12, v13, 16, v12
	v_addc_co_u32_e32 v1, vcc, v3, v1, vcc
	global_store_dword v[0:1], v12, off
	v_and_or_b32 v0, v9, s18, v8
	v_cmp_ne_u32_e32 vcc, 0, v0
	v_cndmask_b32_e64 v0, 0, 1, vcc
	v_lshrrev_b32_e32 v1, 8, v9
	v_and_or_b32 v2, v1, s17, v0
	v_bfe_u32 v1, v9, 20, 11
	v_sub_u32_e32 v3, 0x3f1, v1
	v_or_b32_e32 v0, 0x1000, v2
	v_med3_i32 v3, v3, 0, 13
	v_lshrrev_b32_e32 v8, v3, v0
	v_lshlrev_b32_e32 v3, v3, v8
	v_cmp_ne_u32_e32 vcc, v3, v0
	v_cndmask_b32_e64 v0, 0, 1, vcc
	v_or_b32_e32 v0, v8, v0
	v_mul_f16_sdwa v8, v10, v14 dst_sel:DWORD dst_unused:UNUSED_PAD src0_sel:DWORD src1_sel:WORD_1
	v_fma_f16 v8, v14, v21, -v8
	v_add_u32_e32 v3, 0xfffffc10, v1
	v_cvt_f32_f16_e32 v8, v8
	v_lshl_or_b32 v1, v3, 12, v2
	v_cmp_gt_i32_e32 vcc, 1, v3
	v_cndmask_b32_e32 v0, v1, v0, vcc
	v_and_b32_e32 v1, 7, v0
	v_cmp_lt_i32_e32 vcc, 5, v1
	v_cmp_eq_u32_e64 s[0:1], 3, v1
	v_lshrrev_b32_e32 v10, 2, v0
	v_cvt_f64_f32_e32 v[0:1], v8
	s_or_b64 vcc, s[0:1], vcc
	v_addc_co_u32_e32 v8, vcc, 0, v10, vcc
	v_mul_f64 v[0:1], v[0:1], s[14:15]
	v_cmp_gt_i32_e32 vcc, 31, v3
	v_cndmask_b32_e32 v8, v6, v8, vcc
	v_cmp_ne_u32_e32 vcc, 0, v2
	v_cndmask_b32_e64 v2, 0, 1, vcc
	v_lshl_or_b32 v2, v2, 9, v6
	v_cmp_eq_u32_e32 vcc, s16, v3
	v_cndmask_b32_e32 v2, v8, v2, vcc
	v_and_or_b32 v0, v1, s18, v0
	v_lshrrev_b32_e32 v3, 16, v9
	v_cmp_ne_u32_e32 vcc, 0, v0
	v_and_or_b32 v8, v3, s10, v2
	v_cndmask_b32_e64 v0, 0, 1, vcc
	v_lshrrev_b32_e32 v2, 8, v1
	v_bfe_u32 v3, v1, 20, 11
	v_and_or_b32 v0, v2, s17, v0
	v_sub_u32_e32 v9, 0x3f1, v3
	v_or_b32_e32 v2, 0x1000, v0
	v_med3_i32 v9, v9, 0, 13
	v_lshrrev_b32_e32 v10, v9, v2
	v_lshlrev_b32_e32 v9, v9, v10
	v_cmp_ne_u32_e32 vcc, v9, v2
	v_cndmask_b32_e64 v2, 0, 1, vcc
	v_add_u32_e32 v9, 0xfffffc10, v3
	v_or_b32_e32 v2, v10, v2
	v_lshl_or_b32 v3, v9, 12, v0
	v_cmp_gt_i32_e32 vcc, 1, v9
	v_cndmask_b32_e32 v2, v3, v2, vcc
	v_and_b32_e32 v3, 7, v2
	v_cmp_lt_i32_e32 vcc, 5, v3
	v_cmp_eq_u32_e64 s[0:1], 3, v3
	v_lshrrev_b32_e32 v2, 2, v2
	s_or_b64 vcc, s[0:1], vcc
	v_addc_co_u32_e32 v2, vcc, 0, v2, vcc
	v_cmp_gt_i32_e32 vcc, 31, v9
	v_lshrrev_b32_e32 v12, 16, v11
	v_cndmask_b32_e32 v10, v6, v2, vcc
	s_waitcnt vmcnt(4)
	v_mul_f16_sdwa v2, v12, v15 dst_sel:DWORD dst_unused:UNUSED_PAD src0_sel:DWORD src1_sel:WORD_1
	v_fma_f16 v2, v11, v15, v2
	v_cvt_f32_f16_e32 v13, v2
	v_mad_u64_u32 v[2:3], s[0:1], s8, 56, v[4:5]
	v_cmp_ne_u32_e32 vcc, 0, v0
	v_cvt_f64_f32_e32 v[4:5], v13
	v_cndmask_b32_e64 v0, 0, 1, vcc
	v_lshl_or_b32 v0, v0, 9, v6
	v_cmp_eq_u32_e32 vcc, s16, v9
	v_mul_f64 v[4:5], v[4:5], s[14:15]
	v_cndmask_b32_e32 v9, v10, v0, vcc
	v_mov_b32_e32 v0, v3
	v_lshrrev_b32_e32 v10, 16, v1
	v_mad_u64_u32 v[0:1], s[0:1], s9, 56, v[0:1]
	v_and_or_b32 v1, v10, s10, v9
	v_and_b32_e32 v3, 0xffff, v8
	v_lshl_or_b32 v1, v1, 16, v3
	v_mov_b32_e32 v3, v0
	v_and_or_b32 v0, v5, s18, v4
	v_cmp_ne_u32_e32 vcc, 0, v0
	global_store_dword v[2:3], v1, off
	v_cndmask_b32_e64 v0, 0, 1, vcc
	v_lshrrev_b32_e32 v1, 8, v5
	v_and_or_b32 v4, v1, s17, v0
	v_bfe_u32 v1, v5, 20, 11
	v_sub_u32_e32 v8, 0x3f1, v1
	v_or_b32_e32 v0, 0x1000, v4
	v_med3_i32 v8, v8, 0, 13
	v_lshrrev_b32_e32 v9, v8, v0
	v_lshlrev_b32_e32 v8, v8, v9
	v_cmp_ne_u32_e32 vcc, v8, v0
	v_cndmask_b32_e64 v0, 0, 1, vcc
	v_or_b32_e32 v0, v9, v0
	v_mul_f16_sdwa v9, v11, v15 dst_sel:DWORD dst_unused:UNUSED_PAD src0_sel:DWORD src1_sel:WORD_1
	v_fma_f16 v9, v15, v12, -v9
	v_add_u32_e32 v8, 0xfffffc10, v1
	v_cvt_f32_f16_e32 v9, v9
	v_lshl_or_b32 v1, v8, 12, v4
	v_cmp_gt_i32_e32 vcc, 1, v8
	v_cndmask_b32_e32 v0, v1, v0, vcc
	v_and_b32_e32 v1, 7, v0
	v_cmp_lt_i32_e32 vcc, 5, v1
	v_cmp_eq_u32_e64 s[0:1], 3, v1
	v_lshrrev_b32_e32 v10, 2, v0
	v_cvt_f64_f32_e32 v[0:1], v9
	s_or_b64 vcc, s[0:1], vcc
	v_addc_co_u32_e32 v9, vcc, 0, v10, vcc
	v_mul_f64 v[0:1], v[0:1], s[14:15]
	v_cmp_gt_i32_e32 vcc, 31, v8
	v_cndmask_b32_e32 v9, v6, v9, vcc
	v_cmp_ne_u32_e32 vcc, 0, v4
	v_cndmask_b32_e64 v4, 0, 1, vcc
	v_lshl_or_b32 v4, v4, 9, v6
	v_cmp_eq_u32_e32 vcc, s16, v8
	v_cndmask_b32_e32 v4, v9, v4, vcc
	v_and_or_b32 v0, v1, s18, v0
	v_lshrrev_b32_e32 v5, 16, v5
	v_cmp_ne_u32_e32 vcc, 0, v0
	v_and_or_b32 v10, v5, s10, v4
	v_cndmask_b32_e64 v0, 0, 1, vcc
	v_lshrrev_b32_e32 v4, 8, v1
	v_bfe_u32 v5, v1, 20, 11
	v_and_or_b32 v0, v4, s17, v0
	v_sub_u32_e32 v8, 0x3f1, v5
	v_or_b32_e32 v4, 0x1000, v0
	v_med3_i32 v8, v8, 0, 13
	v_lshrrev_b32_e32 v9, v8, v4
	v_lshlrev_b32_e32 v8, v8, v9
	v_cmp_ne_u32_e32 vcc, v8, v4
	v_cndmask_b32_e64 v4, 0, 1, vcc
	v_add_u32_e32 v8, 0xfffffc10, v5
	v_or_b32_e32 v4, v9, v4
	v_lshl_or_b32 v5, v8, 12, v0
	v_cmp_gt_i32_e32 vcc, 1, v8
	v_cndmask_b32_e32 v4, v5, v4, vcc
	v_and_b32_e32 v5, 7, v4
	v_cmp_lt_i32_e32 vcc, 5, v5
	v_cmp_eq_u32_e64 s[0:1], 3, v5
	v_lshrrev_b32_e32 v4, 2, v4
	s_or_b64 vcc, s[0:1], vcc
	v_addc_co_u32_e32 v9, vcc, 0, v4, vcc
	ds_read2_b32 v[4:5], v7 offset0:77 offset1:84
	v_cmp_gt_i32_e32 vcc, 31, v8
	v_cndmask_b32_e32 v9, v6, v9, vcc
	v_cmp_ne_u32_e32 vcc, 0, v0
	v_cndmask_b32_e64 v0, 0, 1, vcc
	s_waitcnt lgkmcnt(0)
	v_lshrrev_b32_e32 v11, 16, v4
	s_waitcnt vmcnt(4)
	v_mul_f16_sdwa v12, v11, v16 dst_sel:DWORD dst_unused:UNUSED_PAD src0_sel:DWORD src1_sel:WORD_1
	v_fma_f16 v12, v4, v16, v12
	v_cvt_f32_f16_e32 v12, v12
	v_lshl_or_b32 v0, v0, 9, v6
	v_cmp_eq_u32_e32 vcc, s16, v8
	v_cndmask_b32_e32 v0, v9, v0, vcc
	v_cvt_f64_f32_e32 v[8:9], v12
	v_lshrrev_b32_e32 v1, 16, v1
	v_and_or_b32 v12, v1, s10, v0
	v_add_co_u32_e32 v2, vcc, s3, v2
	v_mul_f64 v[0:1], v[8:9], s[14:15]
	v_mov_b32_e32 v9, s2
	v_and_b32_e32 v10, 0xffff, v10
	v_addc_co_u32_e32 v3, vcc, v3, v9, vcc
	v_lshl_or_b32 v8, v12, 16, v10
	global_store_dword v[2:3], v8, off
	v_mul_f16_sdwa v4, v4, v16 dst_sel:DWORD dst_unused:UNUSED_PAD src0_sel:DWORD src1_sel:WORD_1
	v_and_or_b32 v0, v1, s18, v0
	v_cmp_ne_u32_e32 vcc, 0, v0
	v_cndmask_b32_e64 v0, 0, 1, vcc
	v_lshrrev_b32_e32 v8, 8, v1
	v_bfe_u32 v9, v1, 20, 11
	v_and_or_b32 v0, v8, s17, v0
	v_sub_u32_e32 v10, 0x3f1, v9
	v_or_b32_e32 v8, 0x1000, v0
	v_med3_i32 v10, v10, 0, 13
	v_lshrrev_b32_e32 v12, v10, v8
	v_lshlrev_b32_e32 v10, v10, v12
	v_cmp_ne_u32_e32 vcc, v10, v8
	v_fma_f16 v4, v16, v11, -v4
	v_cndmask_b32_e64 v8, 0, 1, vcc
	v_add_u32_e32 v10, 0xfffffc10, v9
	v_cvt_f32_f16_e32 v4, v4
	v_or_b32_e32 v8, v12, v8
	v_lshl_or_b32 v9, v10, 12, v0
	v_cmp_gt_i32_e32 vcc, 1, v10
	v_cndmask_b32_e32 v8, v9, v8, vcc
	v_and_b32_e32 v9, 7, v8
	v_cmp_lt_i32_e32 vcc, 5, v9
	v_cmp_eq_u32_e64 s[0:1], 3, v9
	v_lshrrev_b32_e32 v11, 2, v8
	v_cvt_f64_f32_e32 v[8:9], v4
	s_or_b64 vcc, s[0:1], vcc
	v_addc_co_u32_e32 v4, vcc, 0, v11, vcc
	v_mul_f64 v[8:9], v[8:9], s[14:15]
	v_cmp_gt_i32_e32 vcc, 31, v10
	v_cndmask_b32_e32 v4, v6, v4, vcc
	v_cmp_ne_u32_e32 vcc, 0, v0
	v_cndmask_b32_e64 v0, 0, 1, vcc
	v_lshl_or_b32 v0, v0, 9, v6
	v_cmp_eq_u32_e32 vcc, s16, v10
	v_cndmask_b32_e32 v0, v4, v0, vcc
	v_lshrrev_b32_e32 v1, 16, v1
	v_and_or_b32 v4, v1, s10, v0
	v_and_or_b32 v0, v9, s18, v8
	v_cmp_ne_u32_e32 vcc, 0, v0
	v_cndmask_b32_e64 v0, 0, 1, vcc
	v_lshrrev_b32_e32 v1, 8, v9
	v_bfe_u32 v8, v9, 20, 11
	v_and_or_b32 v0, v1, s17, v0
	v_sub_u32_e32 v10, 0x3f1, v8
	v_or_b32_e32 v1, 0x1000, v0
	v_med3_i32 v10, v10, 0, 13
	v_lshrrev_b32_e32 v11, v10, v1
	v_lshlrev_b32_e32 v10, v10, v11
	v_cmp_ne_u32_e32 vcc, v10, v1
	v_cndmask_b32_e64 v1, 0, 1, vcc
	v_add_u32_e32 v8, 0xfffffc10, v8
	v_or_b32_e32 v1, v11, v1
	v_lshl_or_b32 v10, v8, 12, v0
	v_cmp_gt_i32_e32 vcc, 1, v8
	v_cndmask_b32_e32 v1, v10, v1, vcc
	v_and_b32_e32 v10, 7, v1
	v_cmp_lt_i32_e32 vcc, 5, v10
	v_cmp_eq_u32_e64 s[0:1], 3, v10
	v_lshrrev_b32_e32 v10, 16, v5
	v_lshrrev_b32_e32 v1, 2, v1
	s_or_b64 vcc, s[0:1], vcc
	s_waitcnt vmcnt(4)
	v_mul_f16_sdwa v11, v10, v18 dst_sel:DWORD dst_unused:UNUSED_PAD src0_sel:DWORD src1_sel:WORD_1
	v_addc_co_u32_e32 v1, vcc, 0, v1, vcc
	v_fma_f16 v11, v5, v18, v11
	v_cmp_gt_i32_e32 vcc, 31, v8
	v_cvt_f32_f16_e32 v11, v11
	v_cndmask_b32_e32 v1, v6, v1, vcc
	v_cmp_ne_u32_e32 vcc, 0, v0
	v_cndmask_b32_e64 v0, 0, 1, vcc
	v_lshl_or_b32 v0, v0, 9, v6
	v_cmp_eq_u32_e32 vcc, s16, v8
	v_cndmask_b32_e32 v8, v1, v0, vcc
	v_cvt_f64_f32_e32 v[0:1], v11
	v_lshrrev_b32_e32 v9, 16, v9
	v_and_or_b32 v8, v9, s10, v8
	v_and_b32_e32 v4, 0xffff, v4
	v_mul_f64 v[0:1], v[0:1], s[14:15]
	v_lshl_or_b32 v4, v8, 16, v4
	v_mov_b32_e32 v8, s2
	v_add_co_u32_e32 v2, vcc, s3, v2
	v_addc_co_u32_e32 v3, vcc, v3, v8, vcc
	global_store_dword v[2:3], v4, off
	v_and_or_b32 v0, v1, s18, v0
	v_cmp_ne_u32_e32 vcc, 0, v0
	v_cndmask_b32_e64 v0, 0, 1, vcc
	v_lshrrev_b32_e32 v4, 8, v1
	v_bfe_u32 v8, v1, 20, 11
	v_and_or_b32 v0, v4, s17, v0
	v_sub_u32_e32 v9, 0x3f1, v8
	v_or_b32_e32 v4, 0x1000, v0
	v_med3_i32 v9, v9, 0, 13
	v_lshrrev_b32_e32 v11, v9, v4
	v_lshlrev_b32_e32 v9, v9, v11
	v_mul_f16_sdwa v5, v5, v18 dst_sel:DWORD dst_unused:UNUSED_PAD src0_sel:DWORD src1_sel:WORD_1
	v_cmp_ne_u32_e32 vcc, v9, v4
	v_fma_f16 v5, v18, v10, -v5
	v_cndmask_b32_e64 v4, 0, 1, vcc
	v_add_u32_e32 v8, 0xfffffc10, v8
	v_cvt_f32_f16_e32 v5, v5
	v_or_b32_e32 v4, v11, v4
	v_lshl_or_b32 v9, v8, 12, v0
	v_cmp_gt_i32_e32 vcc, 1, v8
	v_cndmask_b32_e32 v4, v9, v4, vcc
	v_and_b32_e32 v9, 7, v4
	v_cmp_lt_i32_e32 vcc, 5, v9
	v_cmp_eq_u32_e64 s[0:1], 3, v9
	v_lshrrev_b32_e32 v9, 2, v4
	v_cvt_f64_f32_e32 v[4:5], v5
	s_or_b64 vcc, s[0:1], vcc
	v_addc_co_u32_e32 v9, vcc, 0, v9, vcc
	v_mul_f64 v[4:5], v[4:5], s[14:15]
	v_cmp_gt_i32_e32 vcc, 31, v8
	v_cndmask_b32_e32 v9, v6, v9, vcc
	v_cmp_ne_u32_e32 vcc, 0, v0
	v_cndmask_b32_e64 v0, 0, 1, vcc
	v_lshl_or_b32 v0, v0, 9, v6
	v_cmp_eq_u32_e32 vcc, s16, v8
	v_cndmask_b32_e32 v0, v9, v0, vcc
	v_lshrrev_b32_e32 v1, 16, v1
	v_and_or_b32 v0, v1, s10, v0
	v_and_or_b32 v1, v5, s18, v4
	v_cmp_ne_u32_e32 vcc, 0, v1
	v_cndmask_b32_e64 v1, 0, 1, vcc
	v_lshrrev_b32_e32 v4, 8, v5
	v_bfe_u32 v8, v5, 20, 11
	v_and_or_b32 v1, v4, s17, v1
	v_sub_u32_e32 v9, 0x3f1, v8
	v_or_b32_e32 v4, 0x1000, v1
	v_med3_i32 v9, v9, 0, 13
	v_lshrrev_b32_e32 v10, v9, v4
	v_lshlrev_b32_e32 v9, v9, v10
	v_cmp_ne_u32_e32 vcc, v9, v4
	v_cndmask_b32_e64 v4, 0, 1, vcc
	v_add_u32_e32 v8, 0xfffffc10, v8
	v_or_b32_e32 v4, v10, v4
	v_lshl_or_b32 v9, v8, 12, v1
	v_cmp_gt_i32_e32 vcc, 1, v8
	v_cndmask_b32_e32 v4, v9, v4, vcc
	v_and_b32_e32 v9, 7, v4
	v_cmp_lt_i32_e32 vcc, 5, v9
	v_cmp_eq_u32_e64 s[0:1], 3, v9
	v_lshrrev_b32_e32 v4, 2, v4
	s_or_b64 vcc, s[0:1], vcc
	v_addc_co_u32_e32 v4, vcc, 0, v4, vcc
	v_cmp_gt_i32_e32 vcc, 31, v8
	v_cndmask_b32_e32 v4, v6, v4, vcc
	v_cmp_ne_u32_e32 vcc, 0, v1
	v_cndmask_b32_e64 v1, 0, 1, vcc
	v_lshl_or_b32 v1, v1, 9, v6
	v_cmp_eq_u32_e32 vcc, s16, v8
	v_cndmask_b32_e32 v1, v4, v1, vcc
	v_lshrrev_b32_e32 v4, 16, v5
	v_and_or_b32 v1, v4, s10, v1
	v_and_b32_e32 v0, 0xffff, v0
	v_lshl_or_b32 v4, v1, 16, v0
	v_mov_b32_e32 v1, s2
	v_add_co_u32_e32 v0, vcc, s3, v2
	v_addc_co_u32_e32 v1, vcc, v3, v1, vcc
	global_store_dword v[0:1], v4, off
	global_load_dword v8, v23, s[6:7] offset:364
	ds_read2_b32 v[2:3], v7 offset0:91 offset1:98
	s_waitcnt lgkmcnt(0)
	v_lshrrev_b32_e32 v7, 16, v2
	s_waitcnt vmcnt(0)
	v_mul_f16_sdwa v4, v7, v8 dst_sel:DWORD dst_unused:UNUSED_PAD src0_sel:DWORD src1_sel:WORD_1
	v_fma_f16 v4, v2, v8, v4
	v_cvt_f32_f16_e32 v4, v4
	v_mul_f16_sdwa v2, v2, v8 dst_sel:DWORD dst_unused:UNUSED_PAD src0_sel:DWORD src1_sel:WORD_1
	v_fma_f16 v2, v8, v7, -v2
	v_cvt_f32_f16_e32 v2, v2
	v_cvt_f64_f32_e32 v[4:5], v4
	v_cvt_f64_f32_e32 v[7:8], v2
	v_mul_f64 v[4:5], v[4:5], s[14:15]
	v_mul_f64 v[7:8], v[7:8], s[14:15]
	v_and_or_b32 v4, v5, s18, v4
	v_cmp_ne_u32_e32 vcc, 0, v4
	v_cndmask_b32_e64 v4, 0, 1, vcc
	v_lshrrev_b32_e32 v9, 8, v5
	v_bfe_u32 v10, v5, 20, 11
	v_and_or_b32 v4, v9, s17, v4
	v_sub_u32_e32 v11, 0x3f1, v10
	v_or_b32_e32 v9, 0x1000, v4
	v_med3_i32 v11, v11, 0, 13
	v_lshrrev_b32_e32 v12, v11, v9
	v_lshlrev_b32_e32 v11, v11, v12
	v_cmp_ne_u32_e32 vcc, v11, v9
	v_cndmask_b32_e64 v9, 0, 1, vcc
	v_add_u32_e32 v10, 0xfffffc10, v10
	v_or_b32_e32 v9, v12, v9
	v_lshl_or_b32 v11, v10, 12, v4
	v_cmp_gt_i32_e32 vcc, 1, v10
	v_cndmask_b32_e32 v9, v11, v9, vcc
	v_and_b32_e32 v11, 7, v9
	v_cmp_lt_i32_e32 vcc, 5, v11
	v_cmp_eq_u32_e64 s[0:1], 3, v11
	v_lshrrev_b32_e32 v9, 2, v9
	s_or_b64 vcc, s[0:1], vcc
	v_addc_co_u32_e32 v2, vcc, 0, v9, vcc
	v_cmp_gt_i32_e32 vcc, 31, v10
	v_cndmask_b32_e32 v2, v6, v2, vcc
	v_cmp_ne_u32_e32 vcc, 0, v4
	v_cndmask_b32_e64 v4, 0, 1, vcc
	v_lshl_or_b32 v4, v4, 9, v6
	v_cmp_eq_u32_e32 vcc, s16, v10
	v_cndmask_b32_e32 v2, v2, v4, vcc
	v_lshrrev_b32_e32 v4, 16, v5
	v_and_or_b32 v2, v4, s10, v2
	v_and_or_b32 v4, v8, s18, v7
	v_cmp_ne_u32_e32 vcc, 0, v4
	v_cndmask_b32_e64 v4, 0, 1, vcc
	v_lshrrev_b32_e32 v5, 8, v8
	v_bfe_u32 v7, v8, 20, 11
	v_and_or_b32 v4, v5, s17, v4
	v_sub_u32_e32 v9, 0x3f1, v7
	v_or_b32_e32 v5, 0x1000, v4
	v_med3_i32 v9, v9, 0, 13
	v_lshrrev_b32_e32 v10, v9, v5
	v_lshlrev_b32_e32 v9, v9, v10
	v_cmp_ne_u32_e32 vcc, v9, v5
	v_cndmask_b32_e64 v5, 0, 1, vcc
	v_add_u32_e32 v7, 0xfffffc10, v7
	v_or_b32_e32 v5, v10, v5
	v_lshl_or_b32 v9, v7, 12, v4
	v_cmp_gt_i32_e32 vcc, 1, v7
	v_cndmask_b32_e32 v5, v9, v5, vcc
	v_and_b32_e32 v9, 7, v5
	v_cmp_lt_i32_e32 vcc, 5, v9
	v_cmp_eq_u32_e64 s[0:1], 3, v9
	v_lshrrev_b32_e32 v5, 2, v5
	s_or_b64 vcc, s[0:1], vcc
	v_addc_co_u32_e32 v5, vcc, 0, v5, vcc
	v_cmp_gt_i32_e32 vcc, 31, v7
	v_cndmask_b32_e32 v5, v6, v5, vcc
	v_cmp_ne_u32_e32 vcc, 0, v4
	v_cndmask_b32_e64 v4, 0, 1, vcc
	v_lshl_or_b32 v4, v4, 9, v6
	v_cmp_eq_u32_e32 vcc, s16, v7
	v_cndmask_b32_e32 v4, v5, v4, vcc
	v_lshrrev_b32_e32 v5, 16, v8
	v_and_or_b32 v4, v5, s10, v4
	v_and_b32_e32 v2, 0xffff, v2
	v_lshl_or_b32 v2, v4, 16, v2
	v_mov_b32_e32 v4, s2
	v_add_co_u32_e32 v0, vcc, s3, v0
	v_addc_co_u32_e32 v1, vcc, v1, v4, vcc
	global_store_dword v[0:1], v2, off
	global_load_dword v2, v23, s[6:7] offset:392
	v_lshrrev_b32_e32 v7, 16, v3
	s_waitcnt vmcnt(0)
	v_mul_f16_sdwa v4, v7, v2 dst_sel:DWORD dst_unused:UNUSED_PAD src0_sel:DWORD src1_sel:WORD_1
	v_fma_f16 v4, v3, v2, v4
	v_cvt_f32_f16_e32 v4, v4
	v_mul_f16_sdwa v3, v3, v2 dst_sel:DWORD dst_unused:UNUSED_PAD src0_sel:DWORD src1_sel:WORD_1
	v_fma_f16 v2, v2, v7, -v3
	v_cvt_f32_f16_e32 v2, v2
	v_cvt_f64_f32_e32 v[4:5], v4
	v_cvt_f64_f32_e32 v[2:3], v2
	v_mul_f64 v[4:5], v[4:5], s[14:15]
	v_mul_f64 v[2:3], v[2:3], s[14:15]
	v_and_or_b32 v4, v5, s18, v4
	v_cmp_ne_u32_e32 vcc, 0, v4
	v_cndmask_b32_e64 v4, 0, 1, vcc
	v_lshrrev_b32_e32 v8, 8, v5
	v_bfe_u32 v9, v5, 20, 11
	v_and_or_b32 v4, v8, s17, v4
	v_sub_u32_e32 v10, 0x3f1, v9
	v_or_b32_e32 v8, 0x1000, v4
	v_med3_i32 v10, v10, 0, 13
	v_lshrrev_b32_e32 v11, v10, v8
	v_lshlrev_b32_e32 v10, v10, v11
	v_cmp_ne_u32_e32 vcc, v10, v8
	v_cndmask_b32_e64 v8, 0, 1, vcc
	v_add_u32_e32 v9, 0xfffffc10, v9
	v_or_b32_e32 v8, v11, v8
	v_lshl_or_b32 v10, v9, 12, v4
	v_cmp_gt_i32_e32 vcc, 1, v9
	v_cndmask_b32_e32 v8, v10, v8, vcc
	v_and_b32_e32 v10, 7, v8
	v_cmp_lt_i32_e32 vcc, 5, v10
	v_cmp_eq_u32_e64 s[0:1], 3, v10
	v_lshrrev_b32_e32 v7, 2, v8
	s_or_b64 vcc, s[0:1], vcc
	v_addc_co_u32_e32 v7, vcc, 0, v7, vcc
	v_cmp_gt_i32_e32 vcc, 31, v9
	v_cndmask_b32_e32 v7, v6, v7, vcc
	v_cmp_ne_u32_e32 vcc, 0, v4
	v_cndmask_b32_e64 v4, 0, 1, vcc
	v_lshl_or_b32 v4, v4, 9, v6
	v_cmp_eq_u32_e32 vcc, s16, v9
	v_and_or_b32 v2, v3, s18, v2
	v_cndmask_b32_e32 v4, v7, v4, vcc
	v_lshrrev_b32_e32 v5, 16, v5
	v_cmp_ne_u32_e32 vcc, 0, v2
	v_and_or_b32 v4, v5, s10, v4
	v_cndmask_b32_e64 v2, 0, 1, vcc
	v_lshrrev_b32_e32 v5, 8, v3
	v_bfe_u32 v7, v3, 20, 11
	v_and_or_b32 v2, v5, s17, v2
	v_sub_u32_e32 v8, 0x3f1, v7
	v_or_b32_e32 v5, 0x1000, v2
	v_med3_i32 v8, v8, 0, 13
	v_lshrrev_b32_e32 v9, v8, v5
	v_lshlrev_b32_e32 v8, v8, v9
	v_cmp_ne_u32_e32 vcc, v8, v5
	v_cndmask_b32_e64 v5, 0, 1, vcc
	v_add_u32_e32 v7, 0xfffffc10, v7
	v_or_b32_e32 v5, v9, v5
	v_lshl_or_b32 v8, v7, 12, v2
	v_cmp_gt_i32_e32 vcc, 1, v7
	v_cndmask_b32_e32 v5, v8, v5, vcc
	v_and_b32_e32 v8, 7, v5
	v_cmp_lt_i32_e32 vcc, 5, v8
	v_cmp_eq_u32_e64 s[0:1], 3, v8
	v_lshrrev_b32_e32 v5, 2, v5
	s_or_b64 vcc, s[0:1], vcc
	v_addc_co_u32_e32 v5, vcc, 0, v5, vcc
	v_cmp_gt_i32_e32 vcc, 31, v7
	v_cndmask_b32_e32 v5, v6, v5, vcc
	v_cmp_ne_u32_e32 vcc, 0, v2
	v_cndmask_b32_e64 v2, 0, 1, vcc
	v_lshl_or_b32 v2, v2, 9, v6
	v_cmp_eq_u32_e32 vcc, s16, v7
	v_cndmask_b32_e32 v2, v5, v2, vcc
	v_lshrrev_b32_e32 v3, 16, v3
	v_and_or_b32 v2, v3, s10, v2
	v_and_b32_e32 v3, 0xffff, v4
	v_lshl_or_b32 v2, v2, 16, v3
	v_mov_b32_e32 v3, s2
	v_add_co_u32_e32 v0, vcc, s3, v0
	v_addc_co_u32_e32 v1, vcc, v1, v3, vcc
	global_store_dword v[0:1], v2, off
	global_load_dword v4, v23, s[6:7] offset:420
	v_lshrrev_b32_e32 v5, 16, v17
	s_waitcnt vmcnt(0)
	v_mul_f16_sdwa v2, v5, v4 dst_sel:DWORD dst_unused:UNUSED_PAD src0_sel:DWORD src1_sel:WORD_1
	v_fma_f16 v2, v17, v4, v2
	v_cvt_f32_f16_e32 v2, v2
	v_cvt_f64_f32_e32 v[2:3], v2
	v_mul_f64 v[2:3], v[2:3], s[14:15]
	v_and_or_b32 v2, v3, s18, v2
	v_cmp_ne_u32_e32 vcc, 0, v2
	v_cndmask_b32_e64 v2, 0, 1, vcc
	v_lshrrev_b32_e32 v7, 8, v3
	v_bfe_u32 v8, v3, 20, 11
	v_and_or_b32 v2, v7, s17, v2
	v_sub_u32_e32 v9, 0x3f1, v8
	v_or_b32_e32 v7, 0x1000, v2
	v_med3_i32 v9, v9, 0, 13
	v_lshrrev_b32_e32 v10, v9, v7
	v_lshlrev_b32_e32 v9, v9, v10
	v_cmp_ne_u32_e32 vcc, v9, v7
	v_cndmask_b32_e64 v7, 0, 1, vcc
	v_or_b32_e32 v7, v10, v7
	v_mul_f16_sdwa v10, v17, v4 dst_sel:DWORD dst_unused:UNUSED_PAD src0_sel:DWORD src1_sel:WORD_1
	v_fma_f16 v4, v4, v5, -v10
	v_cvt_f32_f16_e32 v4, v4
	v_add_u32_e32 v8, 0xfffffc10, v8
	v_lshl_or_b32 v9, v8, 12, v2
	v_cmp_gt_i32_e32 vcc, 1, v8
	v_cvt_f64_f32_e32 v[4:5], v4
	v_cndmask_b32_e32 v7, v9, v7, vcc
	v_and_b32_e32 v9, 7, v7
	v_cmp_lt_i32_e32 vcc, 5, v9
	v_cmp_eq_u32_e64 s[0:1], 3, v9
	v_mul_f64 v[4:5], v[4:5], s[14:15]
	v_lshrrev_b32_e32 v7, 2, v7
	s_or_b64 vcc, s[0:1], vcc
	v_addc_co_u32_e32 v7, vcc, 0, v7, vcc
	v_cmp_gt_i32_e32 vcc, 31, v8
	v_cndmask_b32_e32 v7, v6, v7, vcc
	v_cmp_ne_u32_e32 vcc, 0, v2
	v_cndmask_b32_e64 v2, 0, 1, vcc
	v_lshl_or_b32 v2, v2, 9, v6
	v_cmp_eq_u32_e32 vcc, s16, v8
	v_cndmask_b32_e32 v2, v7, v2, vcc
	v_lshrrev_b32_e32 v3, 16, v3
	v_and_or_b32 v2, v3, s10, v2
	v_and_or_b32 v3, v5, s18, v4
	v_cmp_ne_u32_e32 vcc, 0, v3
	v_cndmask_b32_e64 v3, 0, 1, vcc
	v_lshrrev_b32_e32 v4, 8, v5
	v_bfe_u32 v7, v5, 20, 11
	v_and_or_b32 v3, v4, s17, v3
	v_sub_u32_e32 v8, 0x3f1, v7
	v_or_b32_e32 v4, 0x1000, v3
	v_med3_i32 v8, v8, 0, 13
	v_lshrrev_b32_e32 v9, v8, v4
	v_lshlrev_b32_e32 v8, v8, v9
	v_cmp_ne_u32_e32 vcc, v8, v4
	v_cndmask_b32_e64 v4, 0, 1, vcc
	v_add_u32_e32 v7, 0xfffffc10, v7
	v_or_b32_e32 v4, v9, v4
	v_lshl_or_b32 v8, v7, 12, v3
	v_cmp_gt_i32_e32 vcc, 1, v7
	v_cndmask_b32_e32 v4, v8, v4, vcc
	v_and_b32_e32 v8, 7, v4
	v_cmp_lt_i32_e32 vcc, 5, v8
	v_cmp_eq_u32_e64 s[0:1], 3, v8
	v_lshrrev_b32_e32 v4, 2, v4
	s_or_b64 vcc, s[0:1], vcc
	v_addc_co_u32_e32 v4, vcc, 0, v4, vcc
	v_cmp_gt_i32_e32 vcc, 31, v7
	v_cndmask_b32_e32 v4, v6, v4, vcc
	v_cmp_ne_u32_e32 vcc, 0, v3
	v_cndmask_b32_e64 v3, 0, 1, vcc
	v_lshl_or_b32 v3, v3, 9, v6
	v_cmp_eq_u32_e32 vcc, s16, v7
	v_cndmask_b32_e32 v3, v4, v3, vcc
	v_lshrrev_b32_e32 v4, 16, v5
	v_and_or_b32 v3, v4, s10, v3
	v_and_b32_e32 v2, 0xffff, v2
	v_lshl_or_b32 v2, v3, 16, v2
	v_mov_b32_e32 v3, s2
	v_add_co_u32_e32 v0, vcc, s3, v0
	v_addc_co_u32_e32 v1, vcc, v1, v3, vcc
	global_store_dword v[0:1], v2, off
.LBB0_15:
	s_endpgm
	.section	.rodata,"a",@progbits
	.p2align	6, 0x0
	.amdhsa_kernel bluestein_single_back_len112_dim1_half_op_CI_CI
		.amdhsa_group_segment_fixed_size 7168
		.amdhsa_private_segment_fixed_size 0
		.amdhsa_kernarg_size 104
		.amdhsa_user_sgpr_count 6
		.amdhsa_user_sgpr_private_segment_buffer 1
		.amdhsa_user_sgpr_dispatch_ptr 0
		.amdhsa_user_sgpr_queue_ptr 0
		.amdhsa_user_sgpr_kernarg_segment_ptr 1
		.amdhsa_user_sgpr_dispatch_id 0
		.amdhsa_user_sgpr_flat_scratch_init 0
		.amdhsa_user_sgpr_private_segment_size 0
		.amdhsa_uses_dynamic_stack 0
		.amdhsa_system_sgpr_private_segment_wavefront_offset 0
		.amdhsa_system_sgpr_workgroup_id_x 1
		.amdhsa_system_sgpr_workgroup_id_y 0
		.amdhsa_system_sgpr_workgroup_id_z 0
		.amdhsa_system_sgpr_workgroup_info 0
		.amdhsa_system_vgpr_workitem_id 0
		.amdhsa_next_free_vgpr 63
		.amdhsa_next_free_sgpr 19
		.amdhsa_reserve_vcc 1
		.amdhsa_reserve_flat_scratch 0
		.amdhsa_float_round_mode_32 0
		.amdhsa_float_round_mode_16_64 0
		.amdhsa_float_denorm_mode_32 3
		.amdhsa_float_denorm_mode_16_64 3
		.amdhsa_dx10_clamp 1
		.amdhsa_ieee_mode 1
		.amdhsa_fp16_overflow 0
		.amdhsa_exception_fp_ieee_invalid_op 0
		.amdhsa_exception_fp_denorm_src 0
		.amdhsa_exception_fp_ieee_div_zero 0
		.amdhsa_exception_fp_ieee_overflow 0
		.amdhsa_exception_fp_ieee_underflow 0
		.amdhsa_exception_fp_ieee_inexact 0
		.amdhsa_exception_int_div_zero 0
	.end_amdhsa_kernel
	.text
.Lfunc_end0:
	.size	bluestein_single_back_len112_dim1_half_op_CI_CI, .Lfunc_end0-bluestein_single_back_len112_dim1_half_op_CI_CI
                                        ; -- End function
	.section	.AMDGPU.csdata,"",@progbits
; Kernel info:
; codeLenInByte = 15420
; NumSgprs: 23
; NumVgprs: 63
; ScratchSize: 0
; MemoryBound: 0
; FloatMode: 240
; IeeeMode: 1
; LDSByteSize: 7168 bytes/workgroup (compile time only)
; SGPRBlocks: 2
; VGPRBlocks: 15
; NumSGPRsForWavesPerEU: 23
; NumVGPRsForWavesPerEU: 63
; Occupancy: 4
; WaveLimiterHint : 1
; COMPUTE_PGM_RSRC2:SCRATCH_EN: 0
; COMPUTE_PGM_RSRC2:USER_SGPR: 6
; COMPUTE_PGM_RSRC2:TRAP_HANDLER: 0
; COMPUTE_PGM_RSRC2:TGID_X_EN: 1
; COMPUTE_PGM_RSRC2:TGID_Y_EN: 0
; COMPUTE_PGM_RSRC2:TGID_Z_EN: 0
; COMPUTE_PGM_RSRC2:TIDIG_COMP_CNT: 0
	.type	__hip_cuid_942324d90cab283d,@object ; @__hip_cuid_942324d90cab283d
	.section	.bss,"aw",@nobits
	.globl	__hip_cuid_942324d90cab283d
__hip_cuid_942324d90cab283d:
	.byte	0                               ; 0x0
	.size	__hip_cuid_942324d90cab283d, 1

	.ident	"AMD clang version 19.0.0git (https://github.com/RadeonOpenCompute/llvm-project roc-6.4.0 25133 c7fe45cf4b819c5991fe208aaa96edf142730f1d)"
	.section	".note.GNU-stack","",@progbits
	.addrsig
	.addrsig_sym __hip_cuid_942324d90cab283d
	.amdgpu_metadata
---
amdhsa.kernels:
  - .args:
      - .actual_access:  read_only
        .address_space:  global
        .offset:         0
        .size:           8
        .value_kind:     global_buffer
      - .actual_access:  read_only
        .address_space:  global
        .offset:         8
        .size:           8
        .value_kind:     global_buffer
      - .actual_access:  read_only
        .address_space:  global
        .offset:         16
        .size:           8
        .value_kind:     global_buffer
      - .actual_access:  read_only
        .address_space:  global
        .offset:         24
        .size:           8
        .value_kind:     global_buffer
      - .actual_access:  read_only
        .address_space:  global
        .offset:         32
        .size:           8
        .value_kind:     global_buffer
      - .offset:         40
        .size:           8
        .value_kind:     by_value
      - .address_space:  global
        .offset:         48
        .size:           8
        .value_kind:     global_buffer
      - .address_space:  global
        .offset:         56
        .size:           8
        .value_kind:     global_buffer
      - .address_space:  global
        .offset:         64
        .size:           8
        .value_kind:     global_buffer
      - .address_space:  global
        .offset:         72
        .size:           8
        .value_kind:     global_buffer
      - .offset:         80
        .size:           4
        .value_kind:     by_value
      - .address_space:  global
        .offset:         88
        .size:           8
        .value_kind:     global_buffer
      - .address_space:  global
        .offset:         96
        .size:           8
        .value_kind:     global_buffer
    .group_segment_fixed_size: 7168
    .kernarg_segment_align: 8
    .kernarg_segment_size: 104
    .language:       OpenCL C
    .language_version:
      - 2
      - 0
    .max_flat_workgroup_size: 256
    .name:           bluestein_single_back_len112_dim1_half_op_CI_CI
    .private_segment_fixed_size: 0
    .sgpr_count:     23
    .sgpr_spill_count: 0
    .symbol:         bluestein_single_back_len112_dim1_half_op_CI_CI.kd
    .uniform_work_group_size: 1
    .uses_dynamic_stack: false
    .vgpr_count:     63
    .vgpr_spill_count: 0
    .wavefront_size: 64
amdhsa.target:   amdgcn-amd-amdhsa--gfx906
amdhsa.version:
  - 1
  - 2
...

	.end_amdgpu_metadata
